;; amdgpu-corpus repo=ROCm/rocFFT kind=compiled arch=gfx950 opt=O3
	.text
	.amdgcn_target "amdgcn-amd-amdhsa--gfx950"
	.amdhsa_code_object_version 6
	.protected	bluestein_single_back_len1530_dim1_dp_op_CI_CI ; -- Begin function bluestein_single_back_len1530_dim1_dp_op_CI_CI
	.globl	bluestein_single_back_len1530_dim1_dp_op_CI_CI
	.p2align	8
	.type	bluestein_single_back_len1530_dim1_dp_op_CI_CI,@function
bluestein_single_back_len1530_dim1_dp_op_CI_CI: ; @bluestein_single_back_len1530_dim1_dp_op_CI_CI
; %bb.0:
	s_load_dwordx4 s[4:7], s[0:1], 0x28
	v_mul_u32_u24_e32 v1, 0x283, v0
	v_mov_b32_e32 v3, 0
	v_add_u32_sdwa v4, s2, v1 dst_sel:DWORD dst_unused:UNUSED_PAD src0_sel:DWORD src1_sel:WORD_1
	v_mov_b32_e32 v5, v3
	v_accvgpr_write_b32 a2, v4
	s_waitcnt lgkmcnt(0)
	v_cmp_gt_u64_e32 vcc, s[4:5], v[4:5]
	s_and_saveexec_b64 s[2:3], vcc
	s_cbranch_execz .LBB0_23
; %bb.1:
	s_load_dwordx2 s[12:13], s[0:1], 0x0
	s_load_dwordx2 s[14:15], s[0:1], 0x38
	s_movk_i32 s2, 0x66
	v_mul_lo_u16_sdwa v1, v1, s2 dst_sel:DWORD dst_unused:UNUSED_PAD src0_sel:WORD_1 src1_sel:DWORD
	v_sub_u16_e32 v2, v0, v1
	s_movk_i32 s2, 0x5a
	v_accvgpr_write_b32 a0, v2
	v_cmp_gt_u16_e64 s[4:5], s2, v2
	v_accvgpr_write_b32 a1, v3
	v_lshlrev_b32_e32 v240, 4, v2
	s_and_saveexec_b64 s[2:3], s[4:5]
	s_cbranch_execz .LBB0_3
; %bb.2:
	s_load_dwordx2 s[8:9], s[0:1], 0x18
	v_accvgpr_read_b32 v12, a2
	v_accvgpr_read_b32 v11, a1
	v_mov_b32_e32 v0, s6
	v_mov_b32_e32 v1, s7
	s_waitcnt lgkmcnt(0)
	s_load_dwordx4 s[8:11], s[8:9], 0x0
	v_accvgpr_read_b32 v10, a0
	v_mov_b32_e32 v241, 0
	v_lshl_add_u64 v[128:129], s[12:13], 0, v[240:241]
	v_mov_b32_e32 v50, 0x5a0
	s_waitcnt lgkmcnt(0)
	v_mad_u64_u32 v[2:3], s[6:7], s10, v12, 0
	v_mad_u64_u32 v[4:5], s[6:7], s8, v10, 0
	v_mov_b32_e32 v6, v3
	v_mov_b32_e32 v8, v5
	v_mad_u64_u32 v[6:7], s[6:7], s11, v12, v[6:7]
	v_mov_b32_e32 v3, v6
	v_mad_u64_u32 v[6:7], s[6:7], s9, v10, v[8:9]
	s_movk_i32 s6, 0x1000
	s_nop 0
	v_add_co_u32_e32 v52, vcc, s6, v128
	s_movk_i32 s7, 0x2000
	s_nop 0
	v_addc_co_u32_e32 v53, vcc, 0, v129, vcc
	v_mov_b32_e32 v5, v6
	v_lshl_add_u64 v[0:1], v[2:3], 4, v[0:1]
	v_add_co_u32_e32 v54, vcc, s7, v128
	v_lshl_add_u64 v[48:49], v[4:5], 4, v[0:1]
	s_movk_i32 s10, 0x3000
	v_addc_co_u32_e32 v55, vcc, 0, v129, vcc
	global_load_dwordx4 v[0:3], v[48:49], off
	global_load_dwordx4 v[4:7], v240, s[12:13]
	v_add_co_u32_e32 v108, vcc, s10, v128
	s_mul_i32 s6, s9, 0x5a0
	v_mad_u64_u32 v[48:49], s[10:11], s8, v50, v[48:49]
	v_add_u32_e32 v49, s6, v49
	v_mad_u64_u32 v[60:61], s[10:11], s8, v50, v[48:49]
	global_load_dwordx4 v[8:11], v240, s[12:13] offset:1440
	global_load_dwordx4 v[12:15], v240, s[12:13] offset:2880
	v_addc_co_u32_e32 v109, vcc, 0, v129, vcc
	global_load_dwordx4 v[40:43], v[52:53], off offset:224
	global_load_dwordx4 v[36:39], v[52:53], off offset:1664
	;; [unrolled: 1-line block ×8, first 2 shown]
	v_add_u32_e32 v61, s6, v61
	global_load_dwordx4 v[52:55], v[48:49], off
	global_load_dwordx4 v[56:59], v[60:61], off
	v_mad_u64_u32 v[48:49], s[10:11], s8, v50, v[60:61]
	v_add_u32_e32 v49, s6, v49
	v_mad_u64_u32 v[68:69], s[10:11], s8, v50, v[48:49]
	v_add_u32_e32 v69, s6, v69
	global_load_dwordx4 v[60:63], v[48:49], off
	global_load_dwordx4 v[64:67], v[68:69], off
	v_mad_u64_u32 v[48:49], s[10:11], s8, v50, v[68:69]
	v_add_u32_e32 v49, s6, v49
	global_load_dwordx4 v[68:71], v[48:49], off
	v_mad_u64_u32 v[48:49], s[10:11], s8, v50, v[48:49]
	v_add_u32_e32 v49, s6, v49
	;; [unrolled: 3-line block ×7, first 2 shown]
	v_mad_u64_u32 v[110:111], s[10:11], s8, v50, v[48:49]
	s_movk_i32 s7, 0x4000
	global_load_dwordx4 v[92:95], v[48:49], off
	v_add_u32_e32 v111, s6, v111
	v_add_co_u32_e32 v120, vcc, s7, v128
	global_load_dwordx4 v[96:99], v[110:111], off
	s_nop 0
	v_addc_co_u32_e32 v121, vcc, 0, v129, vcc
	global_load_dwordx4 v[100:103], v[108:109], off offset:3552
	global_load_dwordx4 v[104:107], v[120:121], off offset:896
	v_mad_u64_u32 v[112:113], s[10:11], s8, v50, v[110:111]
	v_add_u32_e32 v113, s6, v113
	v_mad_u64_u32 v[124:125], s[10:11], s8, v50, v[112:113]
	global_load_dwordx4 v[108:111], v[112:113], off
	v_add_u32_e32 v125, s6, v125
	global_load_dwordx4 v[112:115], v[124:125], off
	global_load_dwordx4 v[116:119], v[120:121], off offset:2336
	s_nop 0
	global_load_dwordx4 v[120:123], v[120:121], off offset:3776
	s_movk_i32 s7, 0x5000
	v_mad_u64_u32 v[132:133], s[10:11], s8, v50, v[124:125]
	v_add_co_u32_e32 v136, vcc, s7, v128
	v_add_u32_e32 v133, s6, v133
	s_nop 0
	v_addc_co_u32_e32 v137, vcc, 0, v129, vcc
	global_load_dwordx4 v[124:127], v[132:133], off
	global_load_dwordx4 v[128:131], v[136:137], off offset:1120
	v_mad_u64_u32 v[50:51], s[8:9], s8, v50, v[132:133]
	v_add_u32_e32 v51, s6, v51
	global_load_dwordx4 v[132:135], v[50:51], off
	s_nop 0
	global_load_dwordx4 v[136:139], v[136:137], off offset:2560
	s_waitcnt vmcnt(32)
	v_mul_f64 v[48:49], v[2:3], v[6:7]
	v_fmac_f64_e32 v[48:49], v[0:1], v[4:5]
	v_mul_f64 v[0:1], v[0:1], v[6:7]
	v_fma_f64 v[50:51], v[2:3], v[4:5], -v[0:1]
	ds_write_b128 v240, v[48:51]
	s_waitcnt vmcnt(21)
	v_mul_f64 v[0:1], v[54:55], v[10:11]
	v_mul_f64 v[2:3], v[52:53], v[10:11]
	v_fmac_f64_e32 v[0:1], v[52:53], v[8:9]
	v_fma_f64 v[2:3], v[54:55], v[8:9], -v[2:3]
	ds_write_b128 v240, v[0:3] offset:1440
	s_waitcnt vmcnt(20)
	v_mul_f64 v[0:1], v[58:59], v[14:15]
	v_mul_f64 v[2:3], v[56:57], v[14:15]
	v_fmac_f64_e32 v[0:1], v[56:57], v[12:13]
	v_fma_f64 v[2:3], v[58:59], v[12:13], -v[2:3]
	ds_write_b128 v240, v[0:3] offset:2880
	;; [unrolled: 6-line block ×16, first 2 shown]
.LBB0_3:
	s_or_b64 exec, exec, s[2:3]
	s_load_dwordx2 s[2:3], s[0:1], 0x20
	s_load_dwordx2 s[6:7], s[0:1], 0x8
	s_waitcnt lgkmcnt(0)
	s_barrier
	s_waitcnt lgkmcnt(0)
                                        ; implicit-def: $vgpr0_vgpr1
                                        ; implicit-def: $vgpr4_vgpr5
                                        ; implicit-def: $vgpr8_vgpr9
                                        ; implicit-def: $vgpr12_vgpr13
                                        ; implicit-def: $vgpr16_vgpr17
                                        ; implicit-def: $vgpr20_vgpr21
                                        ; implicit-def: $vgpr24_vgpr25
                                        ; implicit-def: $vgpr28_vgpr29
                                        ; implicit-def: $vgpr32_vgpr33
                                        ; implicit-def: $vgpr36_vgpr37
                                        ; implicit-def: $vgpr40_vgpr41
                                        ; implicit-def: $vgpr44_vgpr45
                                        ; implicit-def: $vgpr48_vgpr49
                                        ; implicit-def: $vgpr52_vgpr53
                                        ; implicit-def: $vgpr56_vgpr57
                                        ; implicit-def: $vgpr60_vgpr61
                                        ; implicit-def: $vgpr64_vgpr65
	s_and_saveexec_b64 s[0:1], s[4:5]
	s_cbranch_execz .LBB0_5
; %bb.4:
	ds_read_b128 v[0:3], v240
	ds_read_b128 v[4:7], v240 offset:1440
	ds_read_b128 v[8:11], v240 offset:2880
	;; [unrolled: 1-line block ×16, first 2 shown]
.LBB0_5:
	s_or_b64 exec, exec, s[0:1]
	s_mov_b32 s24, 0x5d8e7cdc
	s_waitcnt lgkmcnt(0)
	v_add_f64 v[116:117], v[6:7], -v[66:67]
	s_mov_b32 s0, 0x370991
	s_mov_b32 s25, 0xbfd71e95
	;; [unrolled: 1-line block ×3, first 2 shown]
	v_add_f64 v[138:139], v[4:5], v[64:65]
	v_add_f64 v[150:151], v[4:5], -v[64:65]
	s_mov_b32 s1, 0x3fedd6d0
	v_mul_f64 v[74:75], v[116:117], s[24:25]
	s_mov_b32 s10, 0x75d4884
	s_mov_b32 s39, 0xbfe58eea
	v_add_f64 v[118:119], v[10:11], -v[62:63]
	v_add_f64 v[146:147], v[6:7], v[66:67]
	v_mul_f64 v[76:77], v[150:151], s[24:25]
	v_fma_f64 v[68:69], s[0:1], v[138:139], v[74:75]
	s_mov_b32 s11, 0x3fe7a5f6
	v_add_f64 v[152:153], v[8:9], v[60:61]
	v_add_f64 v[166:167], v[8:9], -v[60:61]
	v_mul_f64 v[78:79], v[118:119], s[38:39]
	s_mov_b32 s34, 0x7c9e640b
	v_add_f64 v[68:69], v[0:1], v[68:69]
	v_fma_f64 v[70:71], v[146:147], s[0:1], -v[76:77]
	v_add_f64 v[158:159], v[10:11], v[62:63]
	v_mul_f64 v[80:81], v[166:167], s[38:39]
	v_fma_f64 v[72:73], s[10:11], v[152:153], v[78:79]
	v_add_f64 v[212:213], v[14:15], -v[58:59]
	s_mov_b32 s18, 0x2b2883cd
	s_mov_b32 s35, 0xbfeca52d
	v_add_f64 v[70:71], v[2:3], v[70:71]
	v_add_f64 v[68:69], v[72:73], v[68:69]
	v_fma_f64 v[72:73], v[158:159], s[10:11], -v[80:81]
	s_mov_b32 s30, 0xeb564b22
	v_add_f64 v[160:161], v[12:13], v[56:57]
	v_add_f64 v[182:183], v[12:13], -v[56:57]
	s_mov_b32 s19, 0x3fdc86fa
	v_mul_f64 v[82:83], v[212:213], s[34:35]
	v_add_f64 v[70:71], v[72:73], v[70:71]
	s_mov_b32 s16, 0x3259b75e
	s_mov_b32 s31, 0xbfefdd0d
	v_add_f64 v[162:163], v[14:15], v[58:59]
	v_mul_f64 v[84:85], v[182:183], s[34:35]
	v_fma_f64 v[72:73], s[18:19], v[160:161], v[82:83]
	v_add_f64 v[226:227], v[18:19], -v[54:55]
	s_mov_b32 s17, 0x3fb79ee6
	v_add_f64 v[68:69], v[72:73], v[68:69]
	v_fma_f64 v[72:73], v[162:163], s[18:19], -v[84:85]
	v_add_f64 v[168:169], v[16:17], v[52:53]
	v_add_f64 v[214:215], v[16:17], -v[52:53]
	v_mul_f64 v[132:133], v[226:227], s[30:31]
	s_mov_b32 s46, 0x923c349f
	v_add_f64 v[70:71], v[72:73], v[70:71]
	v_add_f64 v[170:171], v[18:19], v[54:55]
	v_mul_f64 v[134:135], v[214:215], s[30:31]
	v_fma_f64 v[72:73], s[16:17], v[168:169], v[132:133]
	v_add_f64 v[230:231], v[22:23], -v[50:51]
	s_mov_b32 s26, 0xc61f0d01
	s_mov_b32 s47, 0xbfeec746
	;; [unrolled: 1-line block ×3, first 2 shown]
	v_add_f64 v[68:69], v[72:73], v[68:69]
	v_fma_f64 v[72:73], v[170:171], s[16:17], -v[134:135]
	v_add_f64 v[172:173], v[20:21], v[48:49]
	v_add_f64 v[224:225], v[20:21], -v[48:49]
	s_mov_b32 s27, 0xbfd183b1
	v_mul_f64 v[136:137], v[230:231], s[46:47]
	s_mov_b32 s22, 0x6ed5f1bb
	s_mov_b32 s37, 0xbfe9895b
	v_add_f64 v[70:71], v[72:73], v[70:71]
	v_add_f64 v[174:175], v[22:23], v[50:51]
	v_mul_f64 v[140:141], v[224:225], s[46:47]
	v_fma_f64 v[72:73], s[26:27], v[172:173], v[136:137]
	v_add_f64 v[234:235], v[26:27], -v[46:47]
	s_mov_b32 s23, 0xbfe348c8
	v_add_f64 v[68:69], v[72:73], v[68:69]
	v_fma_f64 v[72:73], v[174:175], s[26:27], -v[140:141]
	s_mov_b32 s40, 0x4363dd80
	v_add_f64 v[184:185], v[24:25], v[44:45]
	v_add_f64 v[232:233], v[24:25], -v[44:45]
	v_mul_f64 v[142:143], v[234:235], s[36:37]
	v_add_f64 v[70:71], v[72:73], v[70:71]
	s_mov_b32 s28, 0x910ea3b9
	s_mov_b32 s41, 0x3fe0d888
	v_add_f64 v[186:187], v[26:27], v[46:47]
	v_mul_f64 v[144:145], v[232:233], s[36:37]
	v_fma_f64 v[72:73], s[22:23], v[184:185], v[142:143]
	v_add_f64 v[238:239], v[30:31], -v[42:43]
	s_mov_b32 s45, 0xbfe0d888
	s_mov_b32 s44, s40
	;; [unrolled: 1-line block ×4, first 2 shown]
	v_add_f64 v[68:69], v[72:73], v[68:69]
	v_fma_f64 v[72:73], v[186:187], s[22:23], -v[144:145]
	v_add_f64 v[188:189], v[28:29], v[40:41]
	v_add_f64 v[236:237], v[28:29], -v[40:41]
	v_mul_f64 v[148:149], v[238:239], s[44:45]
	s_mov_b32 s20, 0x7faef3
	s_mov_b32 s43, 0xbfc7851a
	v_add_f64 v[70:71], v[72:73], v[70:71]
	v_add_f64 v[190:191], v[30:31], v[42:43]
	v_mul_f64 v[154:155], v[236:237], s[44:45]
	v_fma_f64 v[72:73], s[28:29], v[188:189], v[148:149]
	v_add_f64 v[244:245], v[34:35], -v[38:39]
	s_mov_b32 s21, 0xbfef7484
	v_add_f64 v[68:69], v[72:73], v[68:69]
	v_fma_f64 v[72:73], v[190:191], s[28:29], -v[154:155]
	v_add_f64 v[196:197], v[32:33], v[36:37]
	v_mul_f64 v[156:157], v[244:245], s[42:43]
	v_add_f64 v[242:243], v[32:33], -v[36:37]
	v_add_f64 v[70:71], v[72:73], v[70:71]
	v_fma_f64 v[72:73], s[20:21], v[196:197], v[156:157]
	v_add_f64 v[204:205], v[34:35], v[38:39]
	v_mul_f64 v[164:165], v[242:243], s[42:43]
	v_add_f64 v[100:101], v[72:73], v[68:69]
	v_fma_f64 v[68:69], v[204:205], s[20:21], -v[164:165]
	v_mul_f64 v[176:177], v[116:117], s[38:39]
	v_add_f64 v[102:103], v[68:69], v[70:71]
	v_fma_f64 v[68:69], s[10:11], v[138:139], v[176:177]
	v_mul_f64 v[178:179], v[118:119], s[30:31]
	v_add_f64 v[68:69], v[0:1], v[68:69]
	v_fma_f64 v[70:71], s[16:17], v[152:153], v[178:179]
	v_mul_f64 v[194:195], v[150:151], s[38:39]
	v_add_f64 v[68:69], v[70:71], v[68:69]
	v_fma_f64 v[70:71], v[146:147], s[10:11], -v[194:195]
	v_mul_f64 v[198:199], v[166:167], s[30:31]
	v_add_f64 v[70:71], v[2:3], v[70:71]
	v_fma_f64 v[72:73], v[158:159], s[16:17], -v[198:199]
	v_mul_f64 v[180:181], v[212:213], s[36:37]
	v_add_f64 v[70:71], v[72:73], v[70:71]
	v_fma_f64 v[72:73], s[22:23], v[160:161], v[180:181]
	v_mul_f64 v[202:203], v[182:183], s[36:37]
	v_add_f64 v[68:69], v[72:73], v[68:69]
	v_fma_f64 v[72:73], v[162:163], s[22:23], -v[202:203]
	v_mul_f64 v[192:193], v[226:227], s[42:43]
	v_add_f64 v[70:71], v[72:73], v[70:71]
	v_fma_f64 v[72:73], s[20:21], v[168:169], v[192:193]
	;; [unrolled: 6-line block ×3, first 2 shown]
	v_mul_f64 v[216:217], v[224:225], s[40:41]
	s_mov_b32 s49, 0x3feec746
	s_mov_b32 s48, s46
	v_add_f64 v[68:69], v[72:73], v[68:69]
	v_fma_f64 v[72:73], v[174:175], s[28:29], -v[216:217]
	v_mul_f64 v[206:207], v[234:235], s[48:49]
	v_add_f64 v[70:71], v[72:73], v[70:71]
	v_fma_f64 v[72:73], s[26:27], v[184:185], v[206:207]
	v_mul_f64 v[220:221], v[232:233], s[48:49]
	s_mov_b32 s53, 0x3feca52d
	s_mov_b32 s52, s34
	v_add_f64 v[68:69], v[72:73], v[68:69]
	v_fma_f64 v[72:73], v[186:187], s[26:27], -v[220:221]
	v_mul_f64 v[210:211], v[238:239], s[52:53]
	v_add_f64 v[70:71], v[72:73], v[70:71]
	v_fma_f64 v[72:73], s[18:19], v[188:189], v[210:211]
	;; [unrolled: 8-line block ×3, first 2 shown]
	v_mul_f64 v[228:229], v[242:243], s[50:51]
	v_add_f64 v[104:105], v[72:73], v[68:69]
	v_fma_f64 v[68:69], v[204:205], s[0:1], -v[228:229]
	v_add_f64 v[106:107], v[68:69], v[70:71]
	s_barrier
	s_and_saveexec_b64 s[8:9], s[4:5]
	s_cbranch_execz .LBB0_7
; %bb.6:
	v_mul_f64 v[96:97], v[146:147], s[20:21]
	s_mov_b32 s55, 0x3fc7851a
	s_mov_b32 s54, s42
	v_mul_f64 v[92:93], v[158:159], s[0:1]
	v_fma_f64 v[98:99], s[54:55], v[150:151], v[96:97]
	v_mul_f64 v[246:247], v[116:117], s[42:43]
	v_accvgpr_write_b32 a22, v84
	v_mul_f64 v[88:89], v[162:163], s[28:29]
	v_fma_f64 v[94:95], s[24:25], v[166:167], v[92:93]
	v_add_f64 v[98:99], v[2:3], v[98:99]
	v_mul_f64 v[112:113], v[118:119], s[50:51]
	v_fma_f64 v[248:249], s[20:21], v[138:139], v[246:247]
	v_accvgpr_write_b32 a20, v80
	v_accvgpr_write_b32 a23, v85
	v_mul_f64 v[84:85], v[170:171], s[10:11]
	v_fma_f64 v[90:91], s[40:41], v[182:183], v[88:89]
	v_add_f64 v[94:95], v[94:95], v[98:99]
	s_mov_b32 s57, 0x3fe58eea
	s_mov_b32 s56, s38
	v_mul_f64 v[110:111], v[212:213], s[44:45]
	v_fma_f64 v[114:115], s[0:1], v[152:153], v[112:113]
	v_add_f64 v[248:249], v[0:1], v[248:249]
	v_accvgpr_write_b32 a18, v76
	v_accvgpr_write_b32 a21, v81
	v_mul_f64 v[80:81], v[174:175], s[22:23]
	s_mov_b32 s59, 0x3fe9895b
	s_mov_b32 s58, s36
	v_accvgpr_write_b32 a16, v82
	v_fma_f64 v[86:87], s[38:39], v[214:215], v[84:85]
	v_add_f64 v[90:91], v[90:91], v[94:95]
	v_mul_f64 v[108:109], v[226:227], s[56:57]
	v_add_f64 v[114:115], v[114:115], v[248:249]
	v_fma_f64 v[248:249], s[28:29], v[160:161], v[110:111]
	v_accvgpr_write_b32 a8, v74
	v_accvgpr_write_b32 a19, v77
	v_mul_f64 v[76:77], v[186:187], s[18:19]
	v_accvgpr_write_b32 a14, v78
	v_accvgpr_write_b32 a17, v83
	v_fma_f64 v[82:83], s[58:59], v[224:225], v[80:81]
	v_add_f64 v[86:87], v[86:87], v[90:91]
	v_mul_f64 v[98:99], v[230:231], s[36:37]
	v_add_f64 v[114:115], v[248:249], v[114:115]
	v_fma_f64 v[248:249], s[10:11], v[168:169], v[108:109]
	v_accvgpr_write_b32 a9, v75
	v_mul_f64 v[74:75], v[190:191], s[26:27]
	v_accvgpr_write_b32 a15, v79
	v_fma_f64 v[78:79], s[34:35], v[232:233], v[76:77]
	v_add_f64 v[82:83], v[82:83], v[86:87]
	v_mul_f64 v[90:91], v[234:235], s[52:53]
	v_add_f64 v[114:115], v[248:249], v[114:115]
	v_fma_f64 v[248:249], s[22:23], v[172:173], v[98:99]
	v_mul_f64 v[72:73], v[204:205], s[16:17]
	v_fma_f64 v[70:71], s[48:49], v[236:237], v[74:75]
	v_add_f64 v[78:79], v[78:79], v[82:83]
	s_mov_b32 s61, 0x3fefdd0d
	s_mov_b32 s60, s30
	v_mul_f64 v[82:83], v[238:239], s[46:47]
	v_fma_f64 v[94:95], s[18:19], v[184:185], v[90:91]
	v_add_f64 v[114:115], v[248:249], v[114:115]
	v_fma_f64 v[68:69], s[30:31], v[242:243], v[72:73]
	v_add_f64 v[70:71], v[70:71], v[78:79]
	v_mul_f64 v[78:79], v[244:245], s[60:61]
	v_fma_f64 v[86:87], s[26:27], v[188:189], v[82:83]
	v_add_f64 v[94:95], v[94:95], v[114:115]
	v_add_f64 v[70:71], v[68:69], v[70:71]
	v_fma_f64 v[68:69], s[16:17], v[196:197], v[78:79]
	v_add_f64 v[86:87], v[86:87], v[94:95]
	v_fmac_f64_e32 v[96:97], s[42:43], v[150:151]
	v_add_f64 v[68:69], v[68:69], v[86:87]
	v_fmac_f64_e32 v[92:93], s[50:51], v[166:167]
	;; [unrolled: 2-line block ×7, first 2 shown]
	v_add_f64 v[76:77], v[76:77], v[80:81]
	v_fma_f64 v[86:87], v[152:153], s[0:1], -v[112:113]
	v_fma_f64 v[88:89], v[138:139], s[20:21], -v[246:247]
	v_mul_f64 v[112:113], v[146:147], s[28:29]
	v_add_f64 v[74:75], v[74:75], v[76:77]
	v_fma_f64 v[76:77], v[188:189], s[26:27], -v[82:83]
	v_fma_f64 v[82:83], v[168:169], s[10:11], -v[108:109]
	v_add_f64 v[88:89], v[0:1], v[88:89]
	v_mul_f64 v[108:109], v[158:159], s[18:19]
	v_fma_f64 v[114:115], s[40:41], v[150:151], v[112:113]
	v_fma_f64 v[84:85], v[160:161], s[28:29], -v[110:111]
	v_add_f64 v[86:87], v[86:87], v[88:89]
	v_mul_f64 v[96:97], v[162:163], s[16:17]
	v_fma_f64 v[110:111], s[34:35], v[166:167], v[108:109]
	v_add_f64 v[114:115], v[2:3], v[114:115]
	v_fma_f64 v[80:81], v[172:173], s[22:23], -v[98:99]
	v_add_f64 v[84:85], v[84:85], v[86:87]
	v_mul_f64 v[92:93], v[170:171], s[22:23]
	v_fma_f64 v[98:99], s[60:61], v[182:183], v[96:97]
	v_add_f64 v[110:111], v[110:111], v[114:115]
	v_accvgpr_write_b32 a4, v68
	v_fmac_f64_e32 v[72:73], s[60:61], v[242:243]
	v_add_f64 v[82:83], v[82:83], v[84:85]
	v_mul_f64 v[88:89], v[174:175], s[0:1]
	v_fma_f64 v[94:95], s[36:37], v[214:215], v[92:93]
	v_add_f64 v[98:99], v[98:99], v[110:111]
	v_accvgpr_write_b32 a5, v69
	v_accvgpr_write_b32 a6, v70
	;; [unrolled: 1-line block ×3, first 2 shown]
	v_add_f64 v[70:71], v[72:73], v[74:75]
	v_fma_f64 v[72:73], v[196:197], s[16:17], -v[78:79]
	v_fma_f64 v[78:79], v[184:185], s[18:19], -v[90:91]
	v_add_f64 v[80:81], v[80:81], v[82:83]
	v_mul_f64 v[84:85], v[186:187], s[20:21]
	v_fma_f64 v[90:91], s[50:51], v[224:225], v[88:89]
	v_add_f64 v[94:95], v[94:95], v[98:99]
	v_add_f64 v[78:79], v[78:79], v[80:81]
	v_mul_f64 v[82:83], v[190:191], s[10:11]
	v_fma_f64 v[86:87], s[54:55], v[232:233], v[84:85]
	v_add_f64 v[90:91], v[90:91], v[94:95]
	;; [unrolled: 4-line block ×3, first 2 shown]
	v_mul_f64 v[246:247], v[116:117], s[44:45]
	v_add_f64 v[68:69], v[72:73], v[76:77]
	v_fma_f64 v[76:77], s[48:49], v[242:243], v[80:81]
	v_add_f64 v[78:79], v[78:79], v[86:87]
	v_mul_f64 v[114:115], v[118:119], s[52:53]
	v_fma_f64 v[248:249], s[28:29], v[138:139], v[246:247]
	v_fmac_f64_e32 v[112:113], s[44:45], v[150:151]
	v_add_f64 v[78:79], v[76:77], v[78:79]
	v_mul_f64 v[110:111], v[212:213], s[30:31]
	v_fma_f64 v[76:77], s[18:19], v[152:153], v[114:115]
	v_add_f64 v[248:249], v[0:1], v[248:249]
	v_fmac_f64_e32 v[108:109], s[52:53], v[166:167]
	v_add_f64 v[112:113], v[2:3], v[112:113]
	v_mul_f64 v[98:99], v[226:227], s[58:59]
	v_add_f64 v[76:77], v[76:77], v[248:249]
	v_fma_f64 v[248:249], s[16:17], v[160:161], v[110:111]
	v_fmac_f64_e32 v[96:97], s[30:31], v[182:183]
	v_add_f64 v[108:109], v[108:109], v[112:113]
	v_mul_f64 v[94:95], v[230:231], s[24:25]
	v_add_f64 v[76:77], v[248:249], v[76:77]
	v_fma_f64 v[248:249], s[22:23], v[168:169], v[98:99]
	;; [unrolled: 5-line block ×4, first 2 shown]
	v_fmac_f64_e32 v[84:85], s[42:43], v[232:233]
	v_add_f64 v[88:89], v[88:89], v[92:93]
	v_add_f64 v[76:77], v[248:249], v[76:77]
	v_fma_f64 v[248:249], s[10:11], v[188:189], v[86:87]
	v_fmac_f64_e32 v[82:83], s[56:57], v[236:237]
	v_add_f64 v[84:85], v[84:85], v[88:89]
	v_fma_f64 v[96:97], v[138:139], s[28:29], -v[246:247]
	v_add_f64 v[76:77], v[248:249], v[76:77]
	v_mul_f64 v[248:249], v[244:245], s[46:47]
	v_fmac_f64_e32 v[80:81], s[46:47], v[242:243]
	v_add_f64 v[82:83], v[82:83], v[84:85]
	v_fma_f64 v[88:89], v[172:173], s[0:1], -v[94:95]
	v_fma_f64 v[94:95], v[152:153], s[18:19], -v[114:115]
	v_add_f64 v[96:97], v[0:1], v[96:97]
	v_mul_f64 v[246:247], v[146:147], s[22:23]
	v_fma_f64 v[250:251], s[26:27], v[196:197], v[248:249]
	v_add_f64 v[82:83], v[80:81], v[82:83]
	v_fma_f64 v[80:81], v[196:197], s[26:27], -v[248:249]
	v_fma_f64 v[92:93], v[160:161], s[16:17], -v[110:111]
	v_add_f64 v[94:95], v[94:95], v[96:97]
	v_mul_f64 v[112:113], v[158:159], s[26:27]
	v_fma_f64 v[248:249], s[58:59], v[150:151], v[246:247]
	v_fma_f64 v[84:85], v[188:189], s[10:11], -v[86:87]
	v_fma_f64 v[86:87], v[184:185], s[20:21], -v[90:91]
	;; [unrolled: 1-line block ×3, first 2 shown]
	v_add_f64 v[92:93], v[92:93], v[94:95]
	v_mul_f64 v[108:109], v[162:163], s[0:1]
	v_fma_f64 v[114:115], s[46:47], v[166:167], v[112:113]
	v_add_f64 v[248:249], v[2:3], v[248:249]
	v_add_f64 v[90:91], v[90:91], v[92:93]
	v_mul_f64 v[96:97], v[170:171], s[28:29]
	v_fma_f64 v[110:111], s[50:51], v[182:183], v[108:109]
	v_add_f64 v[114:115], v[114:115], v[248:249]
	;; [unrolled: 4-line block ×5, first 2 shown]
	v_mul_f64 v[248:249], v[116:117], s[36:37]
	v_add_f64 v[76:77], v[250:251], v[76:77]
	v_add_f64 v[80:81], v[80:81], v[84:85]
	v_fma_f64 v[84:85], s[54:55], v[236:237], v[88:89]
	v_add_f64 v[86:87], v[86:87], v[94:95]
	v_mul_f64 v[114:115], v[118:119], s[48:49]
	v_fma_f64 v[250:251], s[22:23], v[138:139], v[248:249]
	v_add_f64 v[84:85], v[84:85], v[86:87]
	v_mul_f64 v[110:111], v[212:213], s[24:25]
	;; [unrolled: 3-line block ×3, first 2 shown]
	v_add_f64 v[86:87], v[86:87], v[250:251]
	v_fma_f64 v[250:251], s[0:1], v[160:161], v[110:111]
	v_fmac_f64_e32 v[246:247], s[36:37], v[150:151]
	v_mul_f64 v[94:95], v[230:231], s[60:61]
	v_add_f64 v[86:87], v[250:251], v[86:87]
	v_fma_f64 v[250:251], s[28:29], v[168:169], v[98:99]
	v_fmac_f64_e32 v[112:113], s[48:49], v[166:167]
	v_add_f64 v[246:247], v[2:3], v[246:247]
	v_add_f64 v[86:87], v[250:251], v[86:87]
	v_fma_f64 v[250:251], s[16:17], v[172:173], v[94:95]
	v_add_f64 v[112:113], v[112:113], v[246:247]
	v_fmac_f64_e32 v[108:109], s[24:25], v[182:183]
	v_add_f64 v[86:87], v[250:251], v[86:87]
	v_mul_f64 v[250:251], v[234:235], s[38:39]
	v_add_f64 v[108:109], v[108:109], v[112:113]
	v_fmac_f64_e32 v[96:97], s[44:45], v[214:215]
	v_fma_f64 v[252:253], s[10:11], v[184:185], v[250:251]
	v_add_f64 v[96:97], v[96:97], v[108:109]
	v_fmac_f64_e32 v[92:93], s[60:61], v[224:225]
	v_add_f64 v[86:87], v[252:253], v[86:87]
	v_mul_f64 v[252:253], v[238:239], s[42:43]
	v_fmac_f64_e32 v[90:91], s[38:39], v[232:233]
	v_add_f64 v[92:93], v[92:93], v[96:97]
	v_fma_f64 v[254:255], s[20:21], v[188:189], v[252:253]
	v_mul_f64 v[120:121], v[204:205], s[18:19]
	v_fmac_f64_e32 v[88:89], s[42:43], v[236:237]
	v_add_f64 v[90:91], v[90:91], v[92:93]
	v_add_f64 v[254:255], v[254:255], v[86:87]
	v_fma_f64 v[86:87], s[34:35], v[242:243], v[120:121]
	v_mul_f64 v[122:123], v[244:245], s[52:53]
	v_fmac_f64_e32 v[120:121], s[52:53], v[242:243]
	v_add_f64 v[88:89], v[88:89], v[90:91]
	v_fma_f64 v[112:113], v[138:139], s[22:23], -v[248:249]
	v_add_f64 v[86:87], v[86:87], v[84:85]
	v_fma_f64 v[84:85], s[18:19], v[196:197], v[122:123]
	v_add_f64 v[90:91], v[120:121], v[88:89]
	v_fma_f64 v[88:89], v[196:197], s[18:19], -v[122:123]
	v_fma_f64 v[108:109], v[160:161], s[0:1], -v[110:111]
	;; [unrolled: 1-line block ×3, first 2 shown]
	v_add_f64 v[112:113], v[0:1], v[112:113]
	v_mul_f64 v[122:123], v[146:147], s[26:27]
	v_add_f64 v[110:111], v[110:111], v[112:113]
	v_mul_f64 v[114:115], v[158:159], s[28:29]
	v_fma_f64 v[246:247], s[48:49], v[150:151], v[122:123]
	v_fma_f64 v[98:99], v[168:169], s[28:29], -v[98:99]
	v_add_f64 v[108:109], v[108:109], v[110:111]
	v_mul_f64 v[112:113], v[162:163], s[10:11]
	v_fma_f64 v[120:121], s[44:45], v[166:167], v[114:115]
	v_add_f64 v[246:247], v[2:3], v[246:247]
	v_fma_f64 v[94:95], v[172:173], s[16:17], -v[94:95]
	v_add_f64 v[98:99], v[98:99], v[108:109]
	v_mul_f64 v[110:111], v[170:171], s[18:19]
	v_add_f64 v[120:121], v[120:121], v[246:247]
	v_fma_f64 v[246:247], s[38:39], v[182:183], v[112:113]
	v_fma_f64 v[96:97], v[184:185], s[10:11], -v[250:251]
	v_add_f64 v[94:95], v[94:95], v[98:99]
	v_mul_f64 v[108:109], v[174:175], s[20:21]
	v_add_f64 v[120:121], v[246:247], v[120:121]
	v_fma_f64 v[246:247], s[52:53], v[214:215], v[110:111]
	;; [unrolled: 5-line block ×3, first 2 shown]
	v_add_f64 v[92:93], v[92:93], v[94:95]
	v_mul_f64 v[96:97], v[190:191], s[0:1]
	v_fma_f64 v[94:95], s[30:31], v[232:233], v[98:99]
	v_add_f64 v[120:121], v[246:247], v[120:121]
	v_add_f64 v[88:89], v[88:89], v[92:93]
	v_fma_f64 v[92:93], s[50:51], v[236:237], v[96:97]
	v_add_f64 v[94:95], v[94:95], v[120:121]
	v_mul_f64 v[246:247], v[116:117], s[46:47]
	v_add_f64 v[92:93], v[92:93], v[94:95]
	v_mul_f64 v[120:121], v[118:119], s[40:41]
	v_fma_f64 v[94:95], s[26:27], v[138:139], v[246:247]
	v_add_f64 v[94:95], v[0:1], v[94:95]
	v_fma_f64 v[248:249], s[28:29], v[152:153], v[120:121]
	v_add_f64 v[94:95], v[248:249], v[94:95]
	v_mul_f64 v[248:249], v[212:213], s[56:57]
	v_fma_f64 v[250:251], s[10:11], v[160:161], v[248:249]
	v_add_f64 v[94:95], v[250:251], v[94:95]
	v_mul_f64 v[250:251], v[226:227], s[34:35]
	;; [unrolled: 3-line block ×3, first 2 shown]
	v_add_f64 v[84:85], v[84:85], v[254:255]
	v_fma_f64 v[254:255], s[20:21], v[172:173], v[252:253]
	v_accvgpr_write_b32 a10, v68
	v_add_f64 v[94:95], v[254:255], v[94:95]
	v_mul_f64 v[254:255], v[234:235], s[60:61]
	v_accvgpr_write_b32 a11, v69
	v_accvgpr_write_b32 a12, v70
	;; [unrolled: 1-line block ×3, first 2 shown]
	v_fma_f64 v[68:69], s[16:17], v[184:185], v[254:255]
	v_mul_f64 v[70:71], v[238:239], s[24:25]
	v_add_f64 v[68:69], v[68:69], v[94:95]
	v_fma_f64 v[94:95], s[0:1], v[188:189], v[70:71]
	v_mul_f64 v[124:125], v[204:205], s[22:23]
	v_add_f64 v[68:69], v[94:95], v[68:69]
	;; [unrolled: 3-line block ×3, first 2 shown]
	v_fma_f64 v[92:93], s[22:23], v[196:197], v[126:127]
	v_fmac_f64_e32 v[122:123], s[46:47], v[150:151]
	v_add_f64 v[92:93], v[92:93], v[68:69]
	v_fmac_f64_e32 v[114:115], s[40:41], v[166:167]
	v_add_f64 v[68:69], v[2:3], v[122:123]
	v_add_f64 v[68:69], v[114:115], v[68:69]
	v_fmac_f64_e32 v[112:113], s[56:57], v[182:183]
	v_add_f64 v[68:69], v[112:113], v[68:69]
	v_fmac_f64_e32 v[110:111], s[34:35], v[214:215]
	;; [unrolled: 2-line block ×5, first 2 shown]
	v_fma_f64 v[98:99], v[138:139], s[26:27], -v[246:247]
	v_add_f64 v[68:69], v[96:97], v[68:69]
	v_fma_f64 v[96:97], v[152:153], s[28:29], -v[120:121]
	v_add_f64 v[98:99], v[0:1], v[98:99]
	v_add_f64 v[96:97], v[96:97], v[98:99]
	v_fma_f64 v[114:115], v[160:161], s[10:11], -v[248:249]
	v_fma_f64 v[112:113], v[168:169], s[18:19], -v[250:251]
	v_add_f64 v[96:97], v[114:115], v[96:97]
	v_fma_f64 v[110:111], v[172:173], s[20:21], -v[252:253]
	v_add_f64 v[96:97], v[112:113], v[96:97]
	;; [unrolled: 2-line block ×3, first 2 shown]
	v_mul_f64 v[120:121], v[146:147], s[16:17]
	v_fmac_f64_e32 v[124:125], s[36:37], v[242:243]
	v_fma_f64 v[70:71], v[188:189], s[0:1], -v[70:71]
	v_add_f64 v[96:97], v[108:109], v[96:97]
	v_mul_f64 v[114:115], v[158:159], s[20:21]
	v_fma_f64 v[110:111], s[60:61], v[150:151], v[120:121]
	v_add_f64 v[98:99], v[124:125], v[68:69]
	v_fma_f64 v[68:69], v[196:197], s[22:23], -v[126:127]
	v_add_f64 v[70:71], v[70:71], v[96:97]
	v_mul_f64 v[112:113], v[162:163], s[26:27]
	v_fma_f64 v[108:109], s[54:55], v[166:167], v[114:115]
	v_add_f64 v[110:111], v[2:3], v[110:111]
	v_add_f64 v[96:97], v[68:69], v[70:71]
	v_mul_f64 v[70:71], v[170:171], s[0:1]
	v_add_f64 v[108:109], v[108:109], v[110:111]
	v_fma_f64 v[110:111], s[46:47], v[182:183], v[112:113]
	v_mul_f64 v[68:69], v[174:175], s[18:19]
	v_add_f64 v[108:109], v[110:111], v[108:109]
	v_fma_f64 v[110:111], s[24:25], v[214:215], v[70:71]
	v_add_f64 v[108:109], v[110:111], v[108:109]
	v_fma_f64 v[110:111], s[52:53], v[224:225], v[68:69]
	v_mul_f64 v[122:123], v[186:187], s[28:29]
	v_add_f64 v[108:109], v[110:111], v[108:109]
	v_fma_f64 v[110:111], s[40:41], v[232:233], v[122:123]
	v_mul_f64 v[124:125], v[190:191], s[22:23]
	;; [unrolled: 3-line block ×4, first 2 shown]
	v_add_f64 v[110:111], v[0:1], v[110:111]
	v_fma_f64 v[248:249], s[20:21], v[152:153], v[246:247]
	v_add_f64 v[110:111], v[248:249], v[110:111]
	v_mul_f64 v[248:249], v[212:213], s[48:49]
	v_fma_f64 v[250:251], s[26:27], v[160:161], v[248:249]
	v_add_f64 v[110:111], v[250:251], v[110:111]
	v_mul_f64 v[250:251], v[226:227], s[50:51]
	;; [unrolled: 3-line block ×4, first 2 shown]
	v_fma_f64 v[72:73], s[28:29], v[184:185], v[254:255]
	v_mul_f64 v[74:75], v[238:239], s[58:59]
	v_add_f64 v[72:73], v[72:73], v[110:111]
	v_fma_f64 v[110:111], s[22:23], v[188:189], v[74:75]
	v_mul_f64 v[128:129], v[204:205], s[10:11]
	v_add_f64 v[72:73], v[110:111], v[72:73]
	;; [unrolled: 3-line block ×3, first 2 shown]
	v_fma_f64 v[108:109], s[10:11], v[196:197], v[130:131]
	v_fmac_f64_e32 v[120:121], s[30:31], v[150:151]
	v_add_f64 v[108:109], v[108:109], v[72:73]
	v_fmac_f64_e32 v[114:115], s[42:43], v[166:167]
	v_add_f64 v[72:73], v[2:3], v[120:121]
	v_add_f64 v[72:73], v[114:115], v[72:73]
	v_fmac_f64_e32 v[112:113], s[48:49], v[182:183]
	v_add_f64 v[72:73], v[112:113], v[72:73]
	v_fmac_f64_e32 v[70:71], s[50:51], v[214:215]
	v_add_f64 v[70:71], v[70:71], v[72:73]
	v_fmac_f64_e32 v[68:69], s[34:35], v[224:225]
	v_fma_f64 v[72:73], v[138:139], s[16:17], -v[126:127]
	v_add_f64 v[68:69], v[68:69], v[70:71]
	v_fma_f64 v[70:71], v[152:153], s[20:21], -v[246:247]
	v_add_f64 v[72:73], v[0:1], v[72:73]
	v_add_f64 v[70:71], v[70:71], v[72:73]
	v_fma_f64 v[72:73], v[160:161], s[26:27], -v[248:249]
	v_add_f64 v[70:71], v[72:73], v[70:71]
	v_fma_f64 v[72:73], v[168:169], s[0:1], -v[250:251]
	v_fmac_f64_e32 v[122:123], s[44:45], v[232:233]
	v_add_f64 v[70:71], v[72:73], v[70:71]
	v_fma_f64 v[72:73], v[172:173], s[18:19], -v[252:253]
	v_add_f64 v[68:69], v[122:123], v[68:69]
	v_fmac_f64_e32 v[124:125], s[58:59], v[236:237]
	v_add_f64 v[70:71], v[72:73], v[70:71]
	v_fma_f64 v[72:73], v[184:185], s[28:29], -v[254:255]
	v_add_f64 v[68:69], v[124:125], v[68:69]
	v_add_f64 v[70:71], v[72:73], v[70:71]
	v_fmac_f64_e32 v[128:129], s[56:57], v[242:243]
	v_fma_f64 v[72:73], v[188:189], s[22:23], -v[74:75]
	v_add_f64 v[114:115], v[128:129], v[68:69]
	v_fma_f64 v[68:69], v[196:197], s[10:11], -v[130:131]
	v_add_f64 v[70:71], v[72:73], v[70:71]
	v_add_f64 v[112:113], v[68:69], v[70:71]
	v_mul_f64 v[70:71], v[146:147], s[18:19]
	v_mul_f64 v[68:69], v[158:159], s[22:23]
	v_fma_f64 v[72:73], s[52:53], v[150:151], v[70:71]
	v_add_f64 v[72:73], v[2:3], v[72:73]
	v_fma_f64 v[74:75], s[58:59], v[166:167], v[68:69]
	v_add_f64 v[72:73], v[74:75], v[72:73]
	v_mul_f64 v[74:75], v[162:163], s[20:21]
	v_fma_f64 v[120:121], s[42:43], v[182:183], v[74:75]
	v_add_f64 v[72:73], v[120:121], v[72:73]
	v_mul_f64 v[120:121], v[170:171], s[26:27]
	;; [unrolled: 3-line block ×5, first 2 shown]
	v_fma_f64 v[128:129], s[60:61], v[236:237], v[126:127]
	v_mul_f64 v[130:131], v[116:117], s[34:35]
	v_fmac_f64_e32 v[70:71], s[34:35], v[150:151]
	v_add_f64 v[72:73], v[128:129], v[72:73]
	v_mul_f64 v[128:129], v[118:119], s[36:37]
	v_fma_f64 v[116:117], s[18:19], v[138:139], v[130:131]
	v_fmac_f64_e32 v[68:69], s[36:37], v[166:167]
	v_add_f64 v[70:71], v[2:3], v[70:71]
	v_add_f64 v[116:117], v[0:1], v[116:117]
	v_fma_f64 v[118:119], s[22:23], v[152:153], v[128:129]
	v_mul_f64 v[212:213], v[212:213], s[54:55]
	v_fmac_f64_e32 v[74:75], s[54:55], v[182:183]
	v_add_f64 v[68:69], v[68:69], v[70:71]
	v_add_f64 v[116:117], v[118:119], v[116:117]
	v_fma_f64 v[118:119], s[20:21], v[160:161], v[212:213]
	v_mul_f64 v[226:227], v[226:227], s[48:49]
	v_fmac_f64_e32 v[120:121], s[48:49], v[214:215]
	v_add_f64 v[68:69], v[74:75], v[68:69]
	v_fma_f64 v[130:131], v[138:139], s[18:19], -v[130:131]
	v_add_f64 v[116:117], v[118:119], v[116:117]
	v_fma_f64 v[118:119], s[26:27], v[168:169], v[226:227]
	v_mul_f64 v[230:231], v[230:231], s[56:57]
	v_fmac_f64_e32 v[122:123], s[56:57], v[224:225]
	v_add_f64 v[68:69], v[120:121], v[68:69]
	v_fma_f64 v[128:129], v[152:153], s[22:23], -v[128:129]
	v_add_f64 v[130:131], v[0:1], v[130:131]
	v_add_f64 v[116:117], v[118:119], v[116:117]
	v_fma_f64 v[118:119], s[10:11], v[172:173], v[230:231]
	v_mul_f64 v[234:235], v[234:235], s[24:25]
	v_fmac_f64_e32 v[124:125], s[24:25], v[232:233]
	v_mul_f64 v[70:71], v[146:147], s[0:1]
	v_mul_f64 v[146:147], v[146:147], s[10:11]
	v_add_f64 v[68:69], v[122:123], v[68:69]
	v_fma_f64 v[150:151], v[160:161], s[20:21], -v[212:213]
	v_add_f64 v[128:129], v[128:129], v[130:131]
	v_add_f64 v[116:117], v[118:119], v[116:117]
	v_fma_f64 v[118:119], s[0:1], v[184:185], v[234:235]
	v_mul_f64 v[238:239], v[238:239], s[30:31]
	v_fmac_f64_e32 v[126:127], s[30:31], v[236:237]
	v_mul_f64 v[120:121], v[152:153], s[10:11]
	v_mul_f64 v[122:123], v[158:159], s[10:11]
	v_add_f64 v[68:69], v[124:125], v[68:69]
	v_mul_f64 v[124:125], v[152:153], s[16:17]
	v_mul_f64 v[158:159], v[158:159], s[16:17]
	v_fma_f64 v[152:153], v[168:169], s[26:27], -v[226:227]
	v_add_f64 v[128:129], v[150:151], v[128:129]
	v_add_f64 v[146:147], v[194:195], v[146:147]
	;; [unrolled: 1-line block ×3, first 2 shown]
	v_fma_f64 v[118:119], s[16:17], v[188:189], v[238:239]
	v_mul_f64 v[246:247], v[204:205], s[28:29]
	v_mul_f64 v[74:75], v[138:139], s[10:11]
	v_add_f64 v[68:69], v[126:127], v[68:69]
	v_mul_f64 v[126:127], v[160:161], s[18:19]
	v_mul_f64 v[212:213], v[160:161], s[22:23]
	v_mul_f64 v[160:161], v[162:163], s[22:23]
	v_add_f64 v[128:129], v[152:153], v[128:129]
	v_fma_f64 v[150:151], v[172:173], s[10:11], -v[230:231]
	v_add_f64 v[158:159], v[198:199], v[158:159]
	v_add_f64 v[146:147], v[2:3], v[146:147]
	;; [unrolled: 1-line block ×3, first 2 shown]
	v_fma_f64 v[118:119], s[40:41], v[242:243], v[246:247]
	v_mul_f64 v[166:167], v[138:139], s[0:1]
	v_mul_f64 v[182:183], v[162:163], s[18:19]
	;; [unrolled: 1-line block ×5, first 2 shown]
	v_add_f64 v[128:129], v[150:151], v[128:129]
	v_fma_f64 v[150:151], v[184:185], s[0:1], -v[234:235]
	v_add_f64 v[160:161], v[202:203], v[160:161]
	v_add_f64 v[146:147], v[158:159], v[146:147]
	v_add_f64 v[74:75], v[74:75], -v[176:177]
	v_add_f64 v[118:119], v[118:119], v[72:73]
	v_mul_f64 v[72:73], v[244:245], s[44:45]
	v_fmac_f64_e32 v[246:247], s[44:45], v[242:243]
	v_mul_f64 v[214:215], v[174:175], s[26:27]
	v_mul_f64 v[174:175], v[174:175], s[28:29]
	v_add_f64 v[128:129], v[150:151], v[128:129]
	v_fma_f64 v[150:151], v[188:189], s[16:17], -v[238:239]
	v_add_f64 v[168:169], v[208:209], v[168:169]
	v_add_f64 v[146:147], v[160:161], v[146:147]
	v_add_f64 v[124:125], v[124:125], -v[178:179]
	v_add_f64 v[74:75], v[0:1], v[74:75]
	v_mul_f64 v[226:227], v[186:187], s[22:23]
	v_mul_f64 v[186:187], v[186:187], s[26:27]
	v_add_f64 v[128:129], v[150:151], v[128:129]
	v_add_f64 v[152:153], v[246:247], v[68:69]
	v_fma_f64 v[68:69], v[196:197], s[28:29], -v[72:73]
	v_add_f64 v[174:175], v[216:217], v[174:175]
	v_add_f64 v[146:147], v[168:169], v[146:147]
	v_add_f64 v[168:169], v[212:213], -v[180:181]
	v_add_f64 v[74:75], v[124:125], v[74:75]
	v_mul_f64 v[130:131], v[170:171], s[16:17]
	v_mul_f64 v[170:171], v[172:173], s[26:27]
	;; [unrolled: 1-line block ×3, first 2 shown]
	v_add_f64 v[150:151], v[68:69], v[128:129]
	v_mul_f64 v[128:129], v[190:191], s[18:19]
	v_add_f64 v[186:187], v[220:221], v[186:187]
	v_add_f64 v[146:147], v[174:175], v[146:147]
	v_add_f64 v[162:163], v[162:163], -v[192:193]
	v_add_f64 v[74:75], v[168:169], v[74:75]
	v_mul_f64 v[224:225], v[184:185], s[22:23]
	v_mul_f64 v[184:185], v[184:185], s[26:27]
	v_add_f64 v[128:129], v[222:223], v[128:129]
	v_add_f64 v[146:147], v[186:187], v[146:147]
	v_add_f64 v[158:159], v[172:173], -v[200:201]
	v_add_f64 v[74:75], v[162:163], v[74:75]
	v_fma_f64 v[244:245], s[28:29], v[196:197], v[72:73]
	v_mul_f64 v[230:231], v[188:189], s[28:29]
	v_mul_f64 v[72:73], v[188:189], s[18:19]
	;; [unrolled: 1-line block ×3, first 2 shown]
	v_add_f64 v[128:129], v[128:129], v[146:147]
	v_add_f64 v[146:147], v[184:185], -v[206:207]
	v_add_f64 v[74:75], v[158:159], v[74:75]
	v_mul_f64 v[68:69], v[190:191], s[28:29]
	v_add_f64 v[188:189], v[228:229], v[188:189]
	v_mul_f64 v[190:191], v[196:197], s[20:21]
	v_mul_f64 v[196:197], v[196:197], s[0:1]
	v_add_f64 v[72:73], v[72:73], -v[210:211]
	v_add_f64 v[74:75], v[146:147], v[74:75]
	v_add_f64 v[160:161], v[188:189], v[128:129]
	v_add_f64 v[128:129], v[196:197], -v[218:219]
	v_add_f64 v[72:73], v[72:73], v[74:75]
	v_add_f64 v[158:159], v[128:129], v[72:73]
	;; [unrolled: 1-line block ×3, first 2 shown]
	v_accvgpr_read_b32 v135, a21
	v_accvgpr_read_b32 v134, a20
	v_add_f64 v[122:123], v[134:135], v[122:123]
	v_accvgpr_read_b32 v135, a19
	v_accvgpr_read_b32 v134, a18
	;; [unrolled: 1-line block ×3, first 2 shown]
	v_add_f64 v[70:71], v[134:135], v[70:71]
	v_accvgpr_read_b32 v130, a22
	v_add_f64 v[70:71], v[2:3], v[70:71]
	v_add_f64 v[130:131], v[130:131], v[182:183]
	;; [unrolled: 1-line block ×5, first 2 shown]
	v_accvgpr_read_b32 v129, a17
	v_accvgpr_read_b32 v128, a16
	v_add_f64 v[126:127], v[126:127], -v[128:129]
	v_accvgpr_read_b32 v129, a15
	v_accvgpr_read_b32 v128, a14
	v_add_f64 v[120:121], v[120:121], -v[128:129]
	;; [unrolled: 3-line block ×3, first 2 shown]
	v_add_f64 v[128:129], v[0:1], v[128:129]
	v_add_f64 v[2:3], v[2:3], v[6:7]
	;; [unrolled: 1-line block ×27, first 2 shown]
	v_mul_f64 v[204:205], v[204:205], s[20:21]
	v_add_f64 v[68:69], v[154:155], v[68:69]
	v_add_f64 v[70:71], v[74:75], v[70:71]
	v_add_f64 v[124:125], v[138:139], -v[132:133]
	v_add_f64 v[120:121], v[126:127], v[120:121]
	v_add_f64 v[2:3], v[2:3], v[50:51]
	;; [unrolled: 1-line block ×5, first 2 shown]
	v_add_f64 v[74:75], v[170:171], -v[136:137]
	v_add_f64 v[120:121], v[124:125], v[120:121]
	v_add_f64 v[2:3], v[2:3], v[54:55]
	;; [unrolled: 1-line block ×3, first 2 shown]
	v_accvgpr_read_b32 v5, a1
	v_add_f64 v[122:123], v[72:73], v[68:69]
	v_add_f64 v[72:73], v[224:225], -v[142:143]
	v_add_f64 v[74:75], v[74:75], v[120:121]
	v_add_f64 v[2:3], v[2:3], v[58:59]
	v_add_f64 v[0:1], v[0:1], v[56:57]
	v_accvgpr_read_b32 v4, a0
	v_add_f64 v[70:71], v[230:231], -v[148:149]
	v_add_f64 v[72:73], v[72:73], v[74:75]
	v_add_f64 v[2:3], v[2:3], v[62:63]
	v_add_f64 v[0:1], v[0:1], v[60:61]
	v_mul_lo_u16_e32 v4, 17, v4
	v_add_f64 v[68:69], v[190:191], -v[156:157]
	v_add_f64 v[70:71], v[70:71], v[72:73]
	v_add_f64 v[2:3], v[2:3], v[66:67]
	;; [unrolled: 1-line block ×3, first 2 shown]
	v_lshlrev_b32_e32 v4, 4, v4
	v_add_f64 v[116:117], v[244:245], v[116:117]
	v_add_f64 v[120:121], v[68:69], v[70:71]
	ds_write_b128 v4, v[0:3]
	ds_write_b128 v4, v[120:123] offset:16
	ds_write_b128 v4, v[158:161] offset:32
	ds_write_b128 v4, v[150:153] offset:48
	ds_write_b128 v4, v[112:115] offset:64
	ds_write_b128 v4, v[96:99] offset:80
	ds_write_b128 v4, v[88:91] offset:96
	ds_write_b128 v4, v[80:83] offset:112
	ds_write_b128 v4, a[10:13] offset:128
	ds_write_b128 v4, a[4:7] offset:144
	ds_write_b128 v4, v[76:79] offset:160
	ds_write_b128 v4, v[84:87] offset:176
	ds_write_b128 v4, v[92:95] offset:192
	ds_write_b128 v4, v[108:111] offset:208
	ds_write_b128 v4, v[116:119] offset:224
	ds_write_b128 v4, v[104:107] offset:240
	ds_write_b128 v4, v[100:103] offset:256
.LBB0_7:
	s_or_b64 exec, exec, s[8:9]
	v_accvgpr_read_b32 v55, a1
	s_mov_b64 s[0:1], 0x66
	v_accvgpr_read_b32 v54, a0
	v_lshl_add_u64 v[190:191], v[54:55], 0, s[0:1]
	s_mov_b64 s[0:1], 0xcc
	v_lshl_add_u64 v[188:189], v[54:55], 0, s[0:1]
	s_mov_b64 s[0:1], 0x132
	s_load_dwordx4 s[8:11], s[2:3], 0x0
	v_lshl_add_u64 v[0:1], v[54:55], 0, s[0:1]
	s_movk_i32 s2, 0xf1
	v_mul_lo_u16_sdwa v1, v54, s2 dst_sel:DWORD dst_unused:UNUSED_PAD src0_sel:BYTE_0 src1_sel:DWORD
	v_lshrrev_b16_e32 v36, 12, v1
	v_mul_lo_u16_e32 v1, 17, v36
	v_sub_u16_e32 v1, v54, v1
	v_and_b32_e32 v37, 0xff, v1
	v_lshlrev_b32_e32 v1, 5, v37
	s_waitcnt lgkmcnt(0)
	s_barrier
	global_load_dwordx4 v[228:231], v1, s[6:7] offset:16
	global_load_dwordx4 v[232:235], v1, s[6:7]
	v_mul_lo_u16_sdwa v1, v190, s2 dst_sel:DWORD dst_unused:UNUSED_PAD src0_sel:BYTE_0 src1_sel:DWORD
	v_lshrrev_b16_e32 v38, 12, v1
	v_mul_lo_u16_e32 v1, 17, v38
	v_sub_u16_e32 v1, v190, v1
	v_and_b32_e32 v39, 0xff, v1
	v_lshlrev_b32_e32 v1, 5, v39
	s_mov_b32 s2, 0xf0f1
	global_load_dwordx4 v[82:85], v1, s[6:7] offset:16
	global_load_dwordx4 v[86:89], v1, s[6:7]
	v_mul_u32_u24_sdwa v1, v188, s2 dst_sel:DWORD dst_unused:UNUSED_PAD src0_sel:WORD_0 src1_sel:DWORD
	v_lshrrev_b32_e32 v48, 20, v1
	v_mul_lo_u16_e32 v1, 17, v48
	v_sub_u16_e32 v49, v188, v1
	v_lshlrev_b16_e32 v1, 1, v49
	v_lshlrev_b32_e32 v1, 4, v1
	global_load_dwordx4 v[90:93], v1, s[6:7] offset:16
	global_load_dwordx4 v[94:97], v1, s[6:7]
	v_mul_u32_u24_sdwa v1, v0, s2 dst_sel:DWORD dst_unused:UNUSED_PAD src0_sel:WORD_0 src1_sel:DWORD
	v_lshrrev_b32_e32 v50, 20, v1
	v_mul_lo_u16_e32 v1, 17, v50
	v_sub_u16_e32 v51, v0, v1
	v_lshlrev_b16_e32 v0, 1, v51
	s_mov_b64 s[0:1], 0x198
	v_lshlrev_b32_e32 v0, 4, v0
	global_load_dwordx4 v[108:111], v0, s[6:7] offset:16
	global_load_dwordx4 v[116:119], v0, s[6:7]
	v_lshl_add_u64 v[0:1], v[54:55], 0, s[0:1]
	v_mul_u32_u24_sdwa v1, v0, s2 dst_sel:DWORD dst_unused:UNUSED_PAD src0_sel:WORD_0 src1_sel:DWORD
	v_lshrrev_b32_e32 v52, 20, v1
	v_mul_lo_u16_e32 v1, 17, v52
	v_sub_u16_e32 v53, v0, v1
	v_lshlrev_b16_e32 v0, 1, v53
	v_lshlrev_b32_e32 v0, 4, v0
	global_load_dwordx4 v[124:127], v0, s[6:7]
	global_load_dwordx4 v[120:123], v0, s[6:7] offset:16
	v_mov_b32_e32 v0, 4
	v_lshlrev_b32_sdwa v60, v0, v54 dst_sel:DWORD dst_unused:UNUSED_PAD src0_sel:DWORD src1_sel:WORD_0
	ds_read_b128 v[0:3], v60
	ds_read_b128 v[40:43], v60 offset:1632
	ds_read_b128 v[4:7], v60 offset:16320
	;; [unrolled: 1-line block ×14, first 2 shown]
	s_mov_b32 s0, 0xe8584caa
	s_mov_b32 s1, 0x3febb67a
	;; [unrolled: 1-line block ×4, first 2 shown]
	v_mul_u32_u24_e32 v36, 51, v36
	s_waitcnt lgkmcnt(0)
	s_barrier
	v_cmp_gt_u16_e64 s[2:3], 51, v54
                                        ; implicit-def: $vgpr168_vgpr169
	s_waitcnt vmcnt(9)
	v_mul_f64 v[74:75], v[6:7], v[230:231]
	s_waitcnt vmcnt(8)
	v_mul_f64 v[72:73], v[44:45], v[234:235]
	v_mul_f64 v[70:71], v[46:47], v[234:235]
	;; [unrolled: 1-line block ×3, first 2 shown]
	v_fmac_f64_e32 v[72:73], v[46:47], v[232:233]
	v_fma_f64 v[46:47], v[4:5], v[228:229], -v[74:75]
	v_fmac_f64_e32 v[76:77], v[6:7], v[228:229]
	v_fma_f64 v[44:45], v[44:45], v[232:233], -v[70:71]
	s_waitcnt vmcnt(7)
	v_mul_f64 v[6:7], v[10:11], v[84:85]
	s_waitcnt vmcnt(6)
	v_mul_f64 v[4:5], v[14:15], v[88:89]
	v_mul_f64 v[74:75], v[8:9], v[84:85]
	v_fma_f64 v[78:79], v[12:13], v[86:87], -v[4:5]
	v_accvgpr_write_b32 a12, v82
	v_mul_f64 v[70:71], v[12:13], v[88:89]
	v_accvgpr_write_b32 a16, v86
	v_fma_f64 v[80:81], v[8:9], v[82:83], -v[6:7]
	s_waitcnt vmcnt(4)
	v_mul_f64 v[4:5], v[18:19], v[96:97]
	v_accvgpr_write_b32 a13, v83
	v_accvgpr_write_b32 a14, v84
	;; [unrolled: 1-line block ×3, first 2 shown]
	v_fmac_f64_e32 v[74:75], v[10:11], v[82:83]
	v_fma_f64 v[82:83], v[16:17], v[94:95], -v[4:5]
	v_mul_f64 v[4:5], v[22:23], v[92:93]
	v_accvgpr_write_b32 a17, v87
	v_accvgpr_write_b32 a18, v88
	;; [unrolled: 1-line block ×3, first 2 shown]
	v_fmac_f64_e32 v[70:71], v[14:15], v[86:87]
	v_fma_f64 v[86:87], v[20:21], v[90:91], -v[4:5]
	v_mul_f64 v[88:89], v[20:21], v[92:93]
	v_accvgpr_write_b32 a20, v90
	s_waitcnt vmcnt(2)
	v_mul_f64 v[4:5], v[58:59], v[118:119]
	v_accvgpr_write_b32 a21, v91
	v_accvgpr_write_b32 a22, v92
	;; [unrolled: 1-line block ×3, first 2 shown]
	v_fmac_f64_e32 v[88:89], v[22:23], v[90:91]
	v_fma_f64 v[90:91], v[56:57], v[116:117], -v[4:5]
	v_mul_f64 v[92:93], v[56:57], v[118:119]
	v_mul_f64 v[4:5], v[30:31], v[110:111]
	v_accvgpr_write_b32 a24, v94
	v_fmac_f64_e32 v[92:93], v[58:59], v[116:117]
	v_fma_f64 v[58:59], v[28:29], v[108:109], -v[4:5]
	s_waitcnt vmcnt(1)
	v_mul_f64 v[4:5], v[64:65], v[126:127]
	v_mul_f64 v[84:85], v[16:17], v[96:97]
	v_accvgpr_write_b32 a25, v95
	v_accvgpr_write_b32 a26, v96
	;; [unrolled: 1-line block ×3, first 2 shown]
	v_fma_f64 v[96:97], v[62:63], v[124:125], -v[4:5]
	v_mul_f64 v[62:63], v[62:63], v[126:127]
	s_waitcnt vmcnt(0)
	v_mul_f64 v[4:5], v[68:69], v[122:123]
	v_add_f64 v[6:7], v[44:45], v[46:47]
	v_fmac_f64_e32 v[62:63], v[64:65], v[124:125]
	v_fma_f64 v[64:65], v[66:67], v[120:121], -v[4:5]
	v_add_f64 v[4:5], v[0:1], v[44:45]
	v_fmac_f64_e32 v[0:1], -0.5, v[6:7]
	v_add_f64 v[6:7], v[72:73], -v[76:77]
	v_add_f64 v[10:11], v[72:73], v[76:77]
	v_fma_f64 v[8:9], s[0:1], v[6:7], v[0:1]
	v_fmac_f64_e32 v[0:1], s[16:17], v[6:7]
	v_add_f64 v[6:7], v[2:3], v[72:73]
	v_fmac_f64_e32 v[2:3], -0.5, v[10:11]
	v_add_f64 v[12:13], v[44:45], -v[46:47]
	v_add_f64 v[14:15], v[78:79], v[80:81]
	v_fmac_f64_e32 v[84:85], v[18:19], v[94:95]
	v_fma_f64 v[10:11], s[16:17], v[12:13], v[2:3]
	v_fmac_f64_e32 v[2:3], s[0:1], v[12:13]
	v_add_f64 v[12:13], v[40:41], v[78:79]
	v_fmac_f64_e32 v[40:41], -0.5, v[14:15]
	v_add_f64 v[14:15], v[70:71], -v[74:75]
	v_add_f64 v[18:19], v[70:71], v[74:75]
	v_mul_f64 v[94:95], v[28:29], v[110:111]
	v_fma_f64 v[16:17], s[0:1], v[14:15], v[40:41]
	v_fmac_f64_e32 v[40:41], s[16:17], v[14:15]
	v_add_f64 v[14:15], v[42:43], v[70:71]
	v_fmac_f64_e32 v[42:43], -0.5, v[18:19]
	v_add_f64 v[20:21], v[78:79], -v[80:81]
	v_add_f64 v[22:23], v[82:83], v[86:87]
	v_fmac_f64_e32 v[94:95], v[30:31], v[108:109]
	v_fma_f64 v[18:19], s[16:17], v[20:21], v[42:43]
	v_fmac_f64_e32 v[42:43], s[0:1], v[20:21]
	v_add_f64 v[20:21], v[32:33], v[82:83]
	v_fmac_f64_e32 v[32:33], -0.5, v[22:23]
	v_add_f64 v[22:23], v[84:85], -v[88:89]
	v_add_f64 v[30:31], v[84:85], v[88:89]
	v_mul_f64 v[66:67], v[66:67], v[122:123]
	v_add_f64 v[4:5], v[4:5], v[46:47]
	v_fma_f64 v[28:29], s[0:1], v[22:23], v[32:33]
	v_fmac_f64_e32 v[32:33], s[16:17], v[22:23]
	v_add_f64 v[22:23], v[34:35], v[84:85]
	v_fmac_f64_e32 v[34:35], -0.5, v[30:31]
	v_add_f64 v[44:45], v[82:83], -v[86:87]
	v_add_f64 v[46:47], v[90:91], v[58:59]
	v_fmac_f64_e32 v[66:67], v[68:69], v[120:121]
	v_fma_f64 v[30:31], s[16:17], v[44:45], v[34:35]
	v_fmac_f64_e32 v[34:35], s[0:1], v[44:45]
	v_add_f64 v[44:45], v[24:25], v[90:91]
	v_fmac_f64_e32 v[24:25], -0.5, v[46:47]
	v_add_f64 v[46:47], v[92:93], -v[94:95]
	v_add_f64 v[68:69], v[92:93], v[94:95]
	v_fma_f64 v[56:57], s[0:1], v[46:47], v[24:25]
	v_fmac_f64_e32 v[24:25], s[16:17], v[46:47]
	v_add_f64 v[46:47], v[26:27], v[92:93]
	v_fmac_f64_e32 v[26:27], -0.5, v[68:69]
	v_add_f64 v[68:69], v[90:91], -v[58:59]
	v_accvgpr_write_b32 a32, v108
	v_add_f64 v[44:45], v[44:45], v[58:59]
	v_fma_f64 v[58:59], s[16:17], v[68:69], v[26:27]
	v_fmac_f64_e32 v[26:27], s[0:1], v[68:69]
	v_add_f64 v[68:69], v[112:113], v[96:97]
	v_accvgpr_write_b32 a33, v109
	v_accvgpr_write_b32 a34, v110
	;; [unrolled: 1-line block ×3, first 2 shown]
	v_add_f64 v[108:109], v[68:69], v[64:65]
	v_add_f64 v[68:69], v[96:97], v[64:65]
	v_accvgpr_write_b32 a56, v124
	v_fmac_f64_e32 v[112:113], -0.5, v[68:69]
	v_add_f64 v[68:69], v[62:63], -v[66:67]
	v_accvgpr_write_b32 a57, v125
	v_accvgpr_write_b32 a58, v126
	;; [unrolled: 1-line block ×3, first 2 shown]
	v_fma_f64 v[124:125], s[0:1], v[68:69], v[112:113]
	v_fmac_f64_e32 v[112:113], s[16:17], v[68:69]
	v_add_f64 v[68:69], v[114:115], v[62:63]
	v_add_f64 v[6:7], v[6:7], v[76:77]
	;; [unrolled: 1-line block ×3, first 2 shown]
	v_add_lshl_u32 v68, v36, v37, 4
	ds_write_b128 v68, v[4:7]
	ds_write_b128 v68, v[8:11] offset:272
	ds_write_b128 v68, v[0:3] offset:544
	v_mul_u32_u24_e32 v0, 51, v38
	v_add_lshl_u32 v69, v0, v39, 4
	v_mad_legacy_u16 v0, v48, 51, v49
	v_lshlrev_b32_e32 v70, 4, v0
	v_mad_legacy_u16 v0, v50, 51, v51
	v_add_f64 v[62:63], v[62:63], v[66:67]
	v_lshlrev_b32_e32 v71, 4, v0
	v_mad_legacy_u16 v0, v52, 51, v53
	v_accvgpr_write_b32 a40, v116
	v_accvgpr_write_b32 a52, v120
	v_add_f64 v[12:13], v[12:13], v[80:81]
	v_add_f64 v[14:15], v[14:15], v[74:75]
	v_add_f64 v[20:21], v[20:21], v[86:87]
	v_add_f64 v[22:23], v[22:23], v[88:89]
	v_add_f64 v[46:47], v[46:47], v[94:95]
	v_fmac_f64_e32 v[114:115], -0.5, v[62:63]
	v_add_f64 v[62:63], v[96:97], -v[64:65]
	v_lshlrev_b32_e32 v72, 4, v0
	v_accvgpr_write_b32 a41, v117
	v_accvgpr_write_b32 a42, v118
	;; [unrolled: 1-line block ×6, first 2 shown]
	v_fma_f64 v[126:127], s[16:17], v[62:63], v[114:115]
	v_fmac_f64_e32 v[114:115], s[0:1], v[62:63]
	ds_write_b128 v69, v[12:15]
	ds_write_b128 v69, v[16:19] offset:272
	ds_write_b128 v69, v[40:43] offset:544
	ds_write_b128 v70, v[20:23]
	ds_write_b128 v70, v[28:31] offset:272
	ds_write_b128 v70, v[32:35] offset:544
	;; [unrolled: 3-line block ×4, first 2 shown]
	s_waitcnt lgkmcnt(0)
	s_barrier
	ds_read_b128 v[120:123], v60
	ds_read_b128 v[116:119], v60 offset:1632
	ds_read_b128 v[148:151], v60 offset:4080
	;; [unrolled: 1-line block ×11, first 2 shown]
	s_and_saveexec_b64 s[18:19], s[2:3]
	s_cbranch_execz .LBB0_9
; %bb.8:
	ds_read_b128 v[108:111], v60 offset:3264
	ds_read_b128 v[124:127], v60 offset:7344
	;; [unrolled: 1-line block ×6, first 2 shown]
.LBB0_9:
	s_or_b64 exec, exec, s[18:19]
	v_mov_b32_e32 v38, v54
	v_subrev_u32_e32 v0, 51, v38
	v_cndmask_b32_e64 v22, v0, v38, s[2:3]
	v_mul_hi_i32_i24_e32 v1, 0x50, v22
	v_mul_i32_i24_e32 v0, 0x50, v22
	v_lshl_add_u64 v[0:1], s[6:7], 0, v[0:1]
	s_movk_i32 s19, 0xa1
	global_load_dwordx4 v[40:43], v[0:1], off offset:544
	global_load_dwordx4 v[32:35], v[0:1], off offset:560
	;; [unrolled: 1-line block ×5, first 2 shown]
	v_mul_lo_u16_sdwa v0, v190, s19 dst_sel:DWORD dst_unused:UNUSED_PAD src0_sel:BYTE_0 src1_sel:DWORD
	v_lshrrev_b16_e32 v23, 13, v0
	s_mov_b32 s20, 0xa0a1
	v_mul_lo_u16_e32 v0, 51, v23
	v_mul_u32_u24_sdwa v4, v188, s20 dst_sel:DWORD dst_unused:UNUSED_PAD src0_sel:WORD_0 src1_sel:DWORD
	v_sub_u16_e32 v0, v190, v0
	v_and_b32_e32 v36, 0xff, v0
	v_lshrrev_b32_e32 v0, 21, v4
	v_mul_lo_u16_e32 v0, 51, v0
	s_movk_i32 s18, 0x50
	v_mov_b64_e32 v[2:3], s[6:7]
	v_sub_u16_e32 v37, v188, v0
	v_mov_b32_e32 v1, 0
	v_mad_u64_u32 v[2:3], s[18:19], v36, s18, v[2:3]
	v_mul_lo_u16_e32 v0, 0x50, v37
	global_load_dwordx4 v[96:99], v[2:3], off offset:544
	global_load_dwordx4 v[88:91], v[2:3], off offset:576
	;; [unrolled: 1-line block ×5, first 2 shown]
	v_lshl_add_u64 v[2:3], s[6:7], 0, v[0:1]
	global_load_dwordx4 v[74:77], v[2:3], off offset:544
	global_load_dwordx4 v[52:55], v[2:3], off offset:560
	;; [unrolled: 1-line block ×5, first 2 shown]
	v_mov_b32_e32 v0, 0x132
	v_cmp_lt_u16_e32 vcc, 50, v38
	v_lshlrev_b32_e32 v78, 4, v37
	s_waitcnt lgkmcnt(0)
	v_cndmask_b32_e32 v0, 0, v0, vcc
	v_add_lshl_u32 v79, v22, v0, 4
	v_mul_u32_u24_e32 v0, 0x132, v23
	v_add_lshl_u32 v61, v0, v36, 4
	s_barrier
	s_waitcnt vmcnt(14)
	v_mul_f64 v[2:3], v[150:151], v[42:43]
	s_waitcnt vmcnt(13)
	v_mul_f64 v[6:7], v[154:155], v[34:35]
	v_mul_f64 v[8:9], v[152:153], v[34:35]
	s_waitcnt vmcnt(11)
	v_mul_f64 v[14:15], v[162:163], v[26:27]
	v_mul_f64 v[16:17], v[160:161], v[26:27]
	v_accvgpr_write_b32 a69, v27
	v_mul_f64 v[10:11], v[158:159], v[30:31]
	v_mul_f64 v[12:13], v[156:157], v[30:31]
	s_waitcnt vmcnt(10)
	v_mul_f64 v[18:19], v[166:167], v[64:65]
	v_mul_f64 v[20:21], v[164:165], v[64:65]
	v_accvgpr_write_b32 a77, v35
	v_accvgpr_write_b32 a73, v31
	v_fma_f64 v[14:15], v[160:161], v[24:25], -v[14:15]
	v_accvgpr_write_b32 a68, v26
	v_accvgpr_write_b32 a67, v25
	;; [unrolled: 1-line block ×3, first 2 shown]
	v_fmac_f64_e32 v[16:17], v[162:163], v[24:25]
	v_accvgpr_write_b32 a85, v65
	v_mul_f64 v[4:5], v[148:149], v[42:43]
	s_waitcnt vmcnt(9)
	v_mul_f64 v[24:25], v[130:131], v[98:99]
	v_fma_f64 v[6:7], v[152:153], v[32:33], -v[6:7]
	v_accvgpr_write_b32 a76, v34
	v_accvgpr_write_b32 a75, v33
	v_accvgpr_write_b32 a74, v32
	v_fmac_f64_e32 v[8:9], v[154:155], v[32:33]
	v_fma_f64 v[10:11], v[156:157], v[28:29], -v[10:11]
	v_accvgpr_write_b32 a72, v30
	v_accvgpr_write_b32 a71, v29
	v_accvgpr_write_b32 a70, v28
	v_fmac_f64_e32 v[12:13], v[158:159], v[28:29]
	;; [unrolled: 5-line block ×3, first 2 shown]
	v_mul_f64 v[62:63], v[128:129], v[98:99]
	s_waitcnt vmcnt(7)
	v_mul_f64 v[26:27], v[134:135], v[94:95]
	v_mul_f64 v[28:29], v[138:139], v[90:91]
	s_waitcnt vmcnt(5)
	v_mul_f64 v[32:33], v[146:147], v[82:83]
	v_fma_f64 v[128:129], v[128:129], v[96:97], -v[24:25]
	s_waitcnt vmcnt(1)
	v_mul_f64 v[24:25], v[102:103], v[50:51]
	v_fma_f64 v[2:3], v[148:149], v[40:41], -v[2:3]
	v_accvgpr_write_b32 a81, v43
	v_fmac_f64_e32 v[4:5], v[150:151], v[40:41]
	v_mul_f64 v[148:149], v[132:133], v[94:95]
	v_mul_f64 v[150:151], v[136:137], v[90:91]
	;; [unrolled: 1-line block ×3, first 2 shown]
	v_fmac_f64_e32 v[62:63], v[130:131], v[96:97]
	v_fma_f64 v[130:131], v[132:133], v[92:93], -v[26:27]
	v_fma_f64 v[132:133], v[136:137], v[88:89], -v[28:29]
	;; [unrolled: 1-line block ×4, first 2 shown]
	s_waitcnt vmcnt(0)
	v_mul_f64 v[24:25], v[170:171], v[58:59]
	v_accvgpr_write_b32 a80, v42
	v_accvgpr_write_b32 a79, v41
	;; [unrolled: 1-line block ×3, first 2 shown]
	v_mul_f64 v[30:31], v[142:143], v[86:87]
	v_mul_f64 v[40:41], v[114:115], v[54:55]
	v_fma_f64 v[162:163], v[168:169], v[56:57], -v[24:25]
	v_add_f64 v[24:25], v[120:121], v[6:7]
	v_mul_f64 v[152:153], v[140:141], v[86:87]
	v_fmac_f64_e32 v[148:149], v[134:135], v[92:93]
	v_fma_f64 v[134:135], v[140:141], v[84:85], -v[30:31]
	v_fma_f64 v[140:141], v[112:113], v[52:53], -v[40:41]
	v_add_f64 v[40:41], v[24:25], v[14:15]
	v_add_f64 v[24:25], v[6:7], v[14:15]
	v_mul_f64 v[42:43], v[106:107], v[46:47]
	v_fmac_f64_e32 v[120:121], -0.5, v[24:25]
	v_add_f64 v[24:25], v[8:9], -v[16:17]
	v_fmac_f64_e32 v[152:153], v[142:143], v[84:85]
	v_fma_f64 v[142:143], v[104:105], v[44:45], -v[42:43]
	v_fma_f64 v[42:43], s[0:1], v[24:25], v[120:121]
	v_fmac_f64_e32 v[120:121], s[16:17], v[24:25]
	v_add_f64 v[24:25], v[122:123], v[8:9]
	v_add_f64 v[8:9], v[8:9], v[16:17]
	v_fmac_f64_e32 v[122:123], -0.5, v[8:9]
	v_add_f64 v[6:7], v[6:7], -v[14:15]
	v_add_f64 v[14:15], v[10:11], v[18:19]
	v_accvgpr_write_b32 a36, v44
	v_fma_f64 v[8:9], s[16:17], v[6:7], v[122:123]
	v_fmac_f64_e32 v[122:123], s[0:1], v[6:7]
	v_add_f64 v[6:7], v[2:3], v[10:11]
	v_fmac_f64_e32 v[2:3], -0.5, v[14:15]
	v_add_f64 v[14:15], v[12:13], -v[20:21]
	v_mul_f64 v[160:161], v[104:105], v[46:47]
	v_accvgpr_write_b32 a37, v45
	v_accvgpr_write_b32 a38, v46
	;; [unrolled: 1-line block ×3, first 2 shown]
	v_add_f64 v[46:47], v[24:25], v[16:17]
	v_fma_f64 v[16:17], s[0:1], v[14:15], v[2:3]
	v_fmac_f64_e32 v[2:3], s[16:17], v[14:15]
	v_add_f64 v[14:15], v[4:5], v[12:13]
	v_add_f64 v[12:13], v[12:13], v[20:21]
	v_fmac_f64_e32 v[4:5], -0.5, v[12:13]
	v_add_f64 v[10:11], v[10:11], -v[18:19]
	v_add_f64 v[6:7], v[6:7], v[18:19]
	v_fma_f64 v[12:13], s[16:17], v[10:11], v[4:5]
	v_fmac_f64_e32 v[4:5], s[0:1], v[10:11]
	v_mul_f64 v[18:19], v[2:3], -0.5
	v_mul_f64 v[10:11], v[12:13], s[0:1]
	v_fmac_f64_e32 v[18:19], s[0:1], v[4:5]
	v_mul_f64 v[4:5], v[4:5], -0.5
	v_mul_f64 v[34:35], v[126:127], v[76:77]
	v_accvgpr_write_b32 a63, v59
	v_fmac_f64_e32 v[10:11], 0.5, v[16:17]
	v_mul_f64 v[16:17], v[16:17], s[16:17]
	v_fmac_f64_e32 v[4:5], s[16:17], v[2:3]
	v_fmac_f64_e32 v[150:151], v[138:139], v[88:89]
	v_fma_f64 v[138:139], v[124:125], v[74:75], -v[34:35]
	v_mul_f64 v[164:165], v[168:169], v[58:59]
	v_accvgpr_write_b32 a62, v58
	v_accvgpr_write_b32 a61, v57
	;; [unrolled: 1-line block ×3, first 2 shown]
	v_add_f64 v[14:15], v[14:15], v[20:21]
	v_fmac_f64_e32 v[16:17], 0.5, v[12:13]
	v_add_f64 v[34:35], v[122:123], v[4:5]
	v_add_f64 v[58:59], v[122:123], -v[4:5]
	v_add_f64 v[4:5], v[130:131], v[134:135]
	v_fmac_f64_e32 v[160:161], v[106:107], v[44:45]
	v_add_f64 v[28:29], v[42:43], v[10:11]
	v_add_f64 v[26:27], v[46:47], v[14:15]
	;; [unrolled: 1-line block ×3, first 2 shown]
	v_add_f64 v[44:45], v[42:43], -v[10:11]
	v_add_f64 v[42:43], v[46:47], -v[14:15]
	;; [unrolled: 1-line block ×3, first 2 shown]
	v_add_f64 v[2:3], v[116:117], v[130:131]
	v_fmac_f64_e32 v[116:117], -0.5, v[4:5]
	v_add_f64 v[4:5], v[148:149], -v[152:153]
	v_add_f64 v[8:9], v[148:149], v[152:153]
	v_fmac_f64_e32 v[154:155], v[146:147], v[80:81]
	v_add_f64 v[24:25], v[40:41], v[6:7]
	v_add_f64 v[40:41], v[40:41], -v[6:7]
	v_fma_f64 v[6:7], s[0:1], v[4:5], v[116:117]
	v_fmac_f64_e32 v[116:117], s[16:17], v[4:5]
	v_add_f64 v[4:5], v[118:119], v[148:149]
	v_fmac_f64_e32 v[118:119], -0.5, v[8:9]
	v_add_f64 v[8:9], v[130:131], -v[134:135]
	v_add_f64 v[12:13], v[132:133], v[136:137]
	v_fma_f64 v[10:11], s[16:17], v[8:9], v[118:119]
	v_fmac_f64_e32 v[118:119], s[0:1], v[8:9]
	v_add_f64 v[8:9], v[128:129], v[132:133]
	v_fmac_f64_e32 v[128:129], -0.5, v[12:13]
	v_add_f64 v[12:13], v[150:151], -v[154:155]
	v_add_f64 v[16:17], v[150:151], v[154:155]
	v_fma_f64 v[14:15], s[0:1], v[12:13], v[128:129]
	v_fmac_f64_e32 v[128:129], s[16:17], v[12:13]
	v_add_f64 v[12:13], v[62:63], v[150:151]
	v_fmac_f64_e32 v[62:63], -0.5, v[16:17]
	v_add_f64 v[16:17], v[132:133], -v[136:137]
	v_fmac_f64_e32 v[164:165], v[170:171], v[56:57]
	v_add_f64 v[32:33], v[120:121], v[18:19]
	v_add_f64 v[56:57], v[120:121], -v[18:19]
	v_fma_f64 v[18:19], s[16:17], v[16:17], v[62:63]
	v_mul_f64 v[158:159], v[112:113], v[54:55]
	v_mul_f64 v[146:147], v[100:101], v[50:51]
	v_add_f64 v[4:5], v[4:5], v[152:153]
	v_add_f64 v[12:13], v[12:13], v[154:155]
	v_fmac_f64_e32 v[62:63], s[0:1], v[16:17]
	v_mul_f64 v[16:17], v[18:19], s[0:1]
	v_fmac_f64_e32 v[158:159], v[114:115], v[52:53]
	v_fmac_f64_e32 v[146:147], v[102:103], v[48:49]
	v_add_f64 v[2:3], v[2:3], v[134:135]
	v_add_f64 v[8:9], v[8:9], v[136:137]
	v_fmac_f64_e32 v[16:17], 0.5, v[14:15]
	v_add_f64 v[102:103], v[4:5], v[12:13]
	v_add_f64 v[122:123], v[4:5], -v[12:13]
	v_add_f64 v[4:5], v[140:141], v[144:145]
	v_mul_f64 v[156:157], v[124:125], v[76:77]
	v_add_f64 v[100:101], v[2:3], v[8:9]
	v_add_f64 v[104:105], v[6:7], v[16:17]
	v_mul_f64 v[14:15], v[14:15], s[16:17]
	v_add_f64 v[120:121], v[2:3], -v[8:9]
	v_add_f64 v[124:125], v[6:7], -v[16:17]
	v_add_f64 v[2:3], v[108:109], v[140:141]
	v_fmac_f64_e32 v[108:109], -0.5, v[4:5]
	v_add_f64 v[6:7], v[158:159], -v[146:147]
	v_add_f64 v[8:9], v[158:159], v[146:147]
	v_fmac_f64_e32 v[14:15], 0.5, v[18:19]
	v_mul_f64 v[18:19], v[62:63], -0.5
	v_fma_f64 v[4:5], s[0:1], v[6:7], v[108:109]
	v_fmac_f64_e32 v[108:109], s[16:17], v[6:7]
	v_add_f64 v[6:7], v[110:111], v[158:159]
	v_fmac_f64_e32 v[110:111], -0.5, v[8:9]
	v_add_f64 v[8:9], v[140:141], -v[144:145]
	v_add_f64 v[12:13], v[142:143], v[162:163]
	v_fmac_f64_e32 v[156:157], v[126:127], v[74:75]
	v_mul_f64 v[20:21], v[128:129], -0.5
	v_add_f64 v[106:107], v[10:11], v[14:15]
	v_fmac_f64_e32 v[18:19], s[16:17], v[128:129]
	v_add_f64 v[126:127], v[10:11], -v[14:15]
	v_fma_f64 v[10:11], s[16:17], v[8:9], v[110:111]
	v_fmac_f64_e32 v[110:111], s[0:1], v[8:9]
	v_add_f64 v[8:9], v[138:139], v[142:143]
	v_fmac_f64_e32 v[138:139], -0.5, v[12:13]
	v_add_f64 v[12:13], v[160:161], -v[164:165]
	v_add_f64 v[14:15], v[160:161], v[164:165]
	v_fmac_f64_e32 v[20:21], s[0:1], v[62:63]
	v_add_f64 v[114:115], v[118:119], v[18:19]
	v_add_f64 v[118:119], v[118:119], -v[18:19]
	v_fma_f64 v[18:19], s[0:1], v[12:13], v[138:139]
	v_fmac_f64_e32 v[138:139], s[16:17], v[12:13]
	v_add_f64 v[12:13], v[156:157], v[160:161]
	v_fmac_f64_e32 v[156:157], -0.5, v[14:15]
	v_add_f64 v[14:15], v[142:143], -v[162:163]
	v_add_f64 v[112:113], v[116:117], v[20:21]
	v_add_f64 v[116:117], v[116:117], -v[20:21]
	v_fma_f64 v[20:21], s[16:17], v[14:15], v[156:157]
	v_fmac_f64_e32 v[156:157], s[0:1], v[14:15]
	v_mul_f64 v[14:15], v[20:21], s[0:1]
	v_fmac_f64_e32 v[14:15], 0.5, v[18:19]
	v_mul_f64 v[18:19], v[18:19], s[16:17]
	v_fmac_f64_e32 v[18:19], 0.5, v[20:21]
	v_mul_f64 v[20:21], v[156:157], -0.5
	v_accvgpr_write_b32 a44, v48
	v_mul_f64 v[16:17], v[138:139], -0.5
	v_fmac_f64_e32 v[20:21], s[16:17], v[138:139]
	v_accvgpr_write_b32 a45, v49
	v_accvgpr_write_b32 a46, v50
	;; [unrolled: 1-line block ×3, first 2 shown]
	v_fmac_f64_e32 v[16:17], s[0:1], v[156:157]
	v_add_f64 v[50:51], v[110:111], -v[20:21]
	v_accvgpr_write_b32 a28, v74
	v_accvgpr_write_b32 a48, v52
	v_add_f64 v[2:3], v[2:3], v[144:145]
	v_add_f64 v[6:7], v[6:7], v[146:147]
	;; [unrolled: 1-line block ×4, first 2 shown]
	v_add_f64 v[48:49], v[108:109], -v[16:17]
	v_accvgpr_write_b32 a91, v51
	v_accvgpr_write_b32 a29, v75
	;; [unrolled: 1-line block ×7, first 2 shown]
	v_add_f64 v[152:153], v[2:3], -v[8:9]
	v_add_f64 v[156:157], v[4:5], -v[14:15]
	;; [unrolled: 1-line block ×4, first 2 shown]
	v_accvgpr_write_b32 a90, v50
	v_accvgpr_write_b32 a89, v49
	;; [unrolled: 1-line block ×3, first 2 shown]
	ds_write_b128 v79, v[24:27]
	ds_write_b128 v79, v[28:31] offset:816
	ds_write_b128 v79, v[32:35] offset:1632
	;; [unrolled: 1-line block ×5, first 2 shown]
	ds_write_b128 v61, v[100:103]
	ds_write_b128 v61, v[104:107] offset:816
	ds_write_b128 v61, v[112:115] offset:1632
	;; [unrolled: 1-line block ×5, first 2 shown]
	s_and_saveexec_b64 s[0:1], s[2:3]
	s_cbranch_execz .LBB0_11
; %bb.10:
	v_add_f64 v[6:7], v[6:7], v[12:13]
	v_add_f64 v[22:23], v[4:5], v[14:15]
	;; [unrolled: 1-line block ×6, first 2 shown]
	ds_write_b128 v78, v[4:7] offset:19584
	ds_write_b128 v78, v[22:25] offset:20400
	;; [unrolled: 1-line block ×6, first 2 shown]
.LBB0_11:
	s_or_b64 exec, exec, s[0:1]
	v_accvgpr_read_b32 v0, a0
	v_lshlrev_b32_e32 v0, 6, v0
	v_lshl_add_u64 v[0:1], s[6:7], 0, v[0:1]
	s_mov_b64 s[0:1], 0x1210
	s_movk_i32 s16, 0x1000
	v_lshl_add_u64 v[6:7], v[0:1], 0, s[0:1]
	v_add_co_u32_e32 v0, vcc, s16, v0
	s_waitcnt lgkmcnt(0)
	s_nop 0
	v_addc_co_u32_e32 v1, vcc, 0, v1, vcc
	s_barrier
	ds_read_b128 v[160:163], v60
	ds_read_b128 v[2:5], v60 offset:4896
	ds_read_b128 v[12:15], v60 offset:9792
	;; [unrolled: 1-line block ×14, first 2 shown]
	global_load_dwordx4 v[108:111], v[0:1], off offset:528
	global_load_dwordx4 v[104:107], v[6:7], off offset:48
	;; [unrolled: 1-line block ×4, first 2 shown]
	v_lshlrev_b64 v[32:33], 6, v[188:189]
	v_lshl_add_u64 v[32:33], s[6:7], 0, v[32:33]
	v_lshl_add_u64 v[34:35], v[32:33], 0, s[0:1]
	s_mov_b32 s19, 0xbfee6f0e
	s_mov_b32 s21, 0xbfe2cf23
	s_waitcnt vmcnt(3) lgkmcnt(13)
	v_mul_f64 v[0:1], v[4:5], v[110:111]
	v_fma_f64 v[8:9], v[2:3], v[108:109], -v[0:1]
	v_mul_f64 v[0:1], v[2:3], v[110:111]
	s_waitcnt vmcnt(0) lgkmcnt(12)
	v_mul_f64 v[2:3], v[14:15], v[118:119]
	v_fma_f64 v[10:11], v[12:13], v[116:117], -v[2:3]
	v_mul_f64 v[2:3], v[12:13], v[118:119]
	v_lshlrev_b64 v[12:13], 6, v[190:191]
	v_fmac_f64_e32 v[0:1], v[4:5], v[108:109]
	s_waitcnt lgkmcnt(11)
	v_mul_f64 v[4:5], v[18:19], v[114:115]
	v_lshl_add_u64 v[12:13], s[6:7], 0, v[12:13]
	v_fmac_f64_e32 v[2:3], v[14:15], v[116:117]
	v_fma_f64 v[14:15], v[16:17], v[112:113], -v[4:5]
	v_mul_f64 v[4:5], v[16:17], v[114:115]
	v_lshl_add_u64 v[16:17], v[12:13], 0, s[0:1]
	v_add_co_u32_e32 v12, vcc, s16, v12
	s_waitcnt lgkmcnt(10)
	v_mul_f64 v[6:7], v[24:25], v[106:107]
	v_addc_co_u32_e32 v13, vcc, 0, v13, vcc
	global_load_dwordx4 v[128:131], v[12:13], off offset:528
	global_load_dwordx4 v[120:123], v[16:17], off offset:48
	;; [unrolled: 1-line block ×4, first 2 shown]
	v_fmac_f64_e32 v[4:5], v[18:19], v[112:113]
	v_fma_f64 v[20:21], v[22:23], v[104:105], -v[6:7]
	v_mul_f64 v[6:7], v[22:23], v[106:107]
	v_add_co_u32_e32 v32, vcc, s16, v32
	v_fmac_f64_e32 v[6:7], v[24:25], v[104:105]
	s_nop 0
	v_addc_co_u32_e32 v33, vcc, 0, v33, vcc
	s_mov_b32 s6, 0x134454ff
	s_mov_b32 s7, 0x3fee6f0e
	;; [unrolled: 1-line block ×8, first 2 shown]
	s_waitcnt vmcnt(3) lgkmcnt(8)
	v_mul_f64 v[12:13], v[146:147], v[130:131]
	v_fma_f64 v[24:25], v[144:145], v[128:129], -v[12:13]
	s_waitcnt vmcnt(1) lgkmcnt(6)
	v_mul_f64 v[18:19], v[138:139], v[126:127]
	s_waitcnt vmcnt(0)
	v_mul_f64 v[16:17], v[142:143], v[134:135]
	v_mul_f64 v[12:13], v[144:145], v[130:131]
	v_fma_f64 v[26:27], v[140:141], v[132:133], -v[16:17]
	v_mul_f64 v[16:17], v[140:141], v[134:135]
	v_fma_f64 v[28:29], v[136:137], v[124:125], -v[18:19]
	v_mul_f64 v[18:19], v[136:137], v[126:127]
	v_fmac_f64_e32 v[12:13], v[146:147], v[128:129]
	v_fmac_f64_e32 v[16:17], v[142:143], v[132:133]
	;; [unrolled: 1-line block ×3, first 2 shown]
	global_load_dwordx4 v[144:147], v[32:33], off offset:528
	global_load_dwordx4 v[136:139], v[34:35], off offset:48
	;; [unrolled: 1-line block ×4, first 2 shown]
	s_waitcnt lgkmcnt(5)
	v_mul_f64 v[22:23], v[102:103], v[122:123]
	v_fma_f64 v[30:31], v[100:101], v[120:121], -v[22:23]
	v_mul_f64 v[22:23], v[100:101], v[122:123]
	v_add_f64 v[100:101], v[160:161], v[8:9]
	v_add_f64 v[100:101], v[100:101], v[10:11]
	v_add_f64 v[100:101], v[100:101], v[14:15]
	v_fmac_f64_e32 v[22:23], v[102:103], v[120:121]
	v_add_f64 v[102:103], v[2:3], -v[4:5]
	s_waitcnt vmcnt(3) lgkmcnt(3)
	v_mul_f64 v[32:33], v[186:187], v[146:147]
	s_waitcnt vmcnt(2) lgkmcnt(0)
	v_mul_f64 v[42:43], v[174:175], v[138:139]
	s_waitcnt vmcnt(1)
	v_mul_f64 v[40:41], v[178:179], v[142:143]
	s_waitcnt vmcnt(0)
	v_mul_f64 v[34:35], v[182:183], v[150:151]
	v_fma_f64 v[58:59], v[172:173], v[136:137], -v[42:43]
	v_mul_f64 v[42:43], v[172:173], v[138:139]
	v_add_f64 v[172:173], v[100:101], v[20:21]
	v_add_f64 v[100:101], v[10:11], v[14:15]
	v_fma_f64 v[46:47], v[180:181], v[148:149], -v[34:35]
	v_mul_f64 v[34:35], v[180:181], v[150:151]
	v_fma_f64 v[56:57], v[176:177], v[140:141], -v[40:41]
	v_mul_f64 v[40:41], v[176:177], v[142:143]
	v_fma_f64 v[180:181], -0.5, v[100:101], v[160:161]
	v_add_f64 v[100:101], v[0:1], -v[6:7]
	v_fmac_f64_e32 v[40:41], v[178:179], v[140:141]
	v_fmac_f64_e32 v[42:43], v[174:175], v[136:137]
	v_fma_f64 v[176:177], s[6:7], v[100:101], v[180:181]
	v_add_f64 v[174:175], v[8:9], -v[10:11]
	v_add_f64 v[178:179], v[20:21], -v[14:15]
	v_fmac_f64_e32 v[180:181], s[18:19], v[100:101]
	v_fmac_f64_e32 v[176:177], s[0:1], v[102:103]
	v_add_f64 v[174:175], v[174:175], v[178:179]
	v_fmac_f64_e32 v[180:181], s[20:21], v[102:103]
	v_fmac_f64_e32 v[176:177], s[16:17], v[174:175]
	;; [unrolled: 1-line block ×3, first 2 shown]
	v_add_f64 v[174:175], v[8:9], v[20:21]
	v_fmac_f64_e32 v[160:161], -0.5, v[174:175]
	v_fma_f64 v[44:45], v[184:185], v[144:145], -v[32:33]
	v_mul_f64 v[32:33], v[184:185], v[146:147]
	v_fma_f64 v[184:185], s[18:19], v[102:103], v[160:161]
	v_fmac_f64_e32 v[160:161], s[6:7], v[102:103]
	v_fmac_f64_e32 v[184:185], s[0:1], v[100:101]
	v_fmac_f64_e32 v[160:161], s[20:21], v[100:101]
	v_add_f64 v[100:101], v[162:163], v[0:1]
	v_add_f64 v[174:175], v[10:11], -v[8:9]
	v_add_f64 v[178:179], v[14:15], -v[20:21]
	v_add_f64 v[100:101], v[100:101], v[2:3]
	v_add_f64 v[174:175], v[174:175], v[178:179]
	;; [unrolled: 1-line block ×3, first 2 shown]
	v_fmac_f64_e32 v[184:185], s[16:17], v[174:175]
	v_fmac_f64_e32 v[160:161], s[16:17], v[174:175]
	v_add_f64 v[174:175], v[100:101], v[6:7]
	v_add_f64 v[100:101], v[2:3], v[4:5]
	v_fmac_f64_e32 v[34:35], v[182:183], v[148:149]
	v_fma_f64 v[182:183], -0.5, v[100:101], v[162:163]
	v_add_f64 v[8:9], v[8:9], -v[20:21]
	v_fma_f64 v[178:179], s[18:19], v[8:9], v[182:183]
	v_add_f64 v[10:11], v[10:11], -v[14:15]
	v_add_f64 v[14:15], v[0:1], -v[2:3]
	;; [unrolled: 1-line block ×3, first 2 shown]
	v_fmac_f64_e32 v[182:183], s[6:7], v[8:9]
	v_fmac_f64_e32 v[178:179], s[20:21], v[10:11]
	v_add_f64 v[14:15], v[14:15], v[20:21]
	v_fmac_f64_e32 v[182:183], s[0:1], v[10:11]
	v_fmac_f64_e32 v[178:179], s[16:17], v[14:15]
	;; [unrolled: 1-line block ×3, first 2 shown]
	v_add_f64 v[14:15], v[0:1], v[6:7]
	v_fmac_f64_e32 v[162:163], -0.5, v[14:15]
	v_fmac_f64_e32 v[32:33], v[186:187], v[144:145]
	v_fma_f64 v[186:187], s[6:7], v[10:11], v[162:163]
	v_add_f64 v[0:1], v[2:3], -v[0:1]
	v_add_f64 v[2:3], v[4:5], -v[6:7]
	v_fmac_f64_e32 v[162:163], s[18:19], v[10:11]
	v_fmac_f64_e32 v[186:187], s[20:21], v[8:9]
	v_add_f64 v[0:1], v[0:1], v[2:3]
	v_fmac_f64_e32 v[162:163], s[0:1], v[8:9]
	v_fmac_f64_e32 v[186:187], s[16:17], v[0:1]
	;; [unrolled: 1-line block ×3, first 2 shown]
	v_add_f64 v[0:1], v[164:165], v[24:25]
	v_add_f64 v[0:1], v[0:1], v[26:27]
	;; [unrolled: 1-line block ×5, first 2 shown]
	v_fma_f64 v[196:197], -0.5, v[0:1], v[164:165]
	v_add_f64 v[0:1], v[12:13], -v[22:23]
	v_fma_f64 v[192:193], s[6:7], v[0:1], v[196:197]
	v_add_f64 v[2:3], v[16:17], -v[18:19]
	v_add_f64 v[4:5], v[24:25], -v[26:27]
	v_add_f64 v[6:7], v[30:31], -v[28:29]
	v_fmac_f64_e32 v[196:197], s[18:19], v[0:1]
	v_fmac_f64_e32 v[192:193], s[0:1], v[2:3]
	v_add_f64 v[4:5], v[4:5], v[6:7]
	v_fmac_f64_e32 v[196:197], s[20:21], v[2:3]
	v_fmac_f64_e32 v[192:193], s[16:17], v[4:5]
	v_fmac_f64_e32 v[196:197], s[16:17], v[4:5]
	v_add_f64 v[4:5], v[24:25], v[30:31]
	v_fmac_f64_e32 v[164:165], -0.5, v[4:5]
	v_fma_f64 v[200:201], s[18:19], v[2:3], v[164:165]
	v_fmac_f64_e32 v[164:165], s[6:7], v[2:3]
	v_fmac_f64_e32 v[200:201], s[0:1], v[0:1]
	v_fmac_f64_e32 v[164:165], s[20:21], v[0:1]
	v_add_f64 v[0:1], v[166:167], v[12:13]
	v_add_f64 v[0:1], v[0:1], v[16:17]
	v_add_f64 v[0:1], v[0:1], v[18:19]
	v_add_f64 v[4:5], v[26:27], -v[24:25]
	v_add_f64 v[6:7], v[28:29], -v[30:31]
	v_add_f64 v[190:191], v[0:1], v[22:23]
	v_add_f64 v[0:1], v[16:17], v[18:19]
	v_add_f64 v[4:5], v[4:5], v[6:7]
	v_fma_f64 v[198:199], -0.5, v[0:1], v[166:167]
	v_add_f64 v[0:1], v[24:25], -v[30:31]
	v_fmac_f64_e32 v[200:201], s[16:17], v[4:5]
	v_fmac_f64_e32 v[164:165], s[16:17], v[4:5]
	v_fma_f64 v[194:195], s[18:19], v[0:1], v[198:199]
	v_add_f64 v[2:3], v[26:27], -v[28:29]
	v_add_f64 v[4:5], v[12:13], -v[16:17]
	v_add_f64 v[6:7], v[22:23], -v[18:19]
	v_fmac_f64_e32 v[198:199], s[6:7], v[0:1]
	v_fmac_f64_e32 v[194:195], s[20:21], v[2:3]
	v_add_f64 v[4:5], v[4:5], v[6:7]
	v_fmac_f64_e32 v[198:199], s[0:1], v[2:3]
	v_fmac_f64_e32 v[194:195], s[16:17], v[4:5]
	v_fmac_f64_e32 v[198:199], s[16:17], v[4:5]
	v_add_f64 v[4:5], v[12:13], v[22:23]
	v_fmac_f64_e32 v[166:167], -0.5, v[4:5]
	v_fma_f64 v[202:203], s[6:7], v[2:3], v[166:167]
	v_fmac_f64_e32 v[166:167], s[18:19], v[2:3]
	v_fmac_f64_e32 v[202:203], s[20:21], v[0:1]
	v_fmac_f64_e32 v[166:167], s[0:1], v[0:1]
	v_add_f64 v[0:1], v[168:169], v[44:45]
	v_add_f64 v[0:1], v[0:1], v[46:47]
	v_add_f64 v[0:1], v[0:1], v[56:57]
	v_add_f64 v[4:5], v[16:17], -v[12:13]
	v_add_f64 v[6:7], v[18:19], -v[22:23]
	v_add_f64 v[204:205], v[0:1], v[58:59]
	v_add_f64 v[0:1], v[46:47], v[56:57]
	v_add_f64 v[4:5], v[4:5], v[6:7]
	v_fma_f64 v[212:213], -0.5, v[0:1], v[168:169]
	v_add_f64 v[0:1], v[32:33], -v[42:43]
	v_fmac_f64_e32 v[202:203], s[16:17], v[4:5]
	v_fmac_f64_e32 v[166:167], s[16:17], v[4:5]
	;; [unrolled: 28-line block ×3, first 2 shown]
	v_fma_f64 v[210:211], s[18:19], v[0:1], v[214:215]
	v_add_f64 v[2:3], v[46:47], -v[56:57]
	v_add_f64 v[4:5], v[32:33], -v[34:35]
	;; [unrolled: 1-line block ×3, first 2 shown]
	v_fmac_f64_e32 v[214:215], s[6:7], v[0:1]
	v_fmac_f64_e32 v[210:211], s[20:21], v[2:3]
	v_add_f64 v[4:5], v[4:5], v[6:7]
	v_fmac_f64_e32 v[214:215], s[0:1], v[2:3]
	v_fmac_f64_e32 v[210:211], s[16:17], v[4:5]
	;; [unrolled: 1-line block ×3, first 2 shown]
	v_add_f64 v[4:5], v[32:33], v[42:43]
	v_fmac_f64_e32 v[170:171], -0.5, v[4:5]
	v_fma_f64 v[218:219], s[6:7], v[2:3], v[170:171]
	v_add_f64 v[4:5], v[34:35], -v[32:33]
	v_add_f64 v[6:7], v[40:41], -v[42:43]
	v_fmac_f64_e32 v[170:171], s[18:19], v[2:3]
	v_fmac_f64_e32 v[218:219], s[20:21], v[0:1]
	v_add_f64 v[4:5], v[4:5], v[6:7]
	v_fmac_f64_e32 v[170:171], s[0:1], v[0:1]
	v_fmac_f64_e32 v[218:219], s[16:17], v[4:5]
	;; [unrolled: 1-line block ×3, first 2 shown]
	ds_write_b128 v60, v[172:175]
	ds_write_b128 v60, v[176:179] offset:4896
	ds_write_b128 v60, v[184:187] offset:9792
	;; [unrolled: 1-line block ×14, first 2 shown]
	s_waitcnt lgkmcnt(0)
	s_barrier
	s_and_saveexec_b64 s[0:1], s[4:5]
	s_cbranch_execz .LBB0_13
; %bb.12:
	v_mov_b32_e32 v241, 0
	v_lshl_add_u64 v[0:1], s[12:13], 0, v[240:241]
	v_add_co_u32_e32 v6, vcc, 0x5000, v0
	ds_read_b128 v[2:5], v60
	s_nop 0
	v_addc_co_u32_e32 v7, vcc, 0, v1, vcc
	global_load_dwordx4 v[6:9], v[6:7], off offset:4000
	s_mov_b64 s[6:7], 0x5fa0
	v_lshl_add_u64 v[14:15], v[0:1], 0, s[6:7]
	s_movk_i32 s6, 0x7000
	s_waitcnt vmcnt(0) lgkmcnt(0)
	v_mul_f64 v[10:11], v[4:5], v[8:9]
	v_mul_f64 v[12:13], v[2:3], v[8:9]
	v_fma_f64 v[10:11], v[2:3], v[6:7], -v[10:11]
	v_fmac_f64_e32 v[12:13], v[4:5], v[6:7]
	global_load_dwordx4 v[6:9], v[14:15], off offset:1440
	ds_write_b128 v60, v[10:13]
	ds_read_b128 v[2:5], v240 offset:1440
	ds_read_b128 v[100:103], v240 offset:23040
	s_waitcnt vmcnt(0) lgkmcnt(1)
	v_mul_f64 v[10:11], v[4:5], v[8:9]
	v_mul_f64 v[12:13], v[2:3], v[8:9]
	v_fma_f64 v[10:11], v[2:3], v[6:7], -v[10:11]
	v_fmac_f64_e32 v[12:13], v[4:5], v[6:7]
	global_load_dwordx4 v[6:9], v[14:15], off offset:2880
	ds_read_b128 v[2:5], v240 offset:2880
	v_add_co_u32_e32 v14, vcc, s6, v0
	ds_write_b128 v240, v[10:13] offset:1440
	s_nop 0
	v_addc_co_u32_e32 v15, vcc, 0, v1, vcc
	s_mov_b32 s6, 0x8000
	s_waitcnt vmcnt(0) lgkmcnt(1)
	v_mul_f64 v[10:11], v[4:5], v[8:9]
	v_mul_f64 v[12:13], v[2:3], v[8:9]
	v_fma_f64 v[10:11], v[2:3], v[6:7], -v[10:11]
	v_fmac_f64_e32 v[12:13], v[4:5], v[6:7]
	global_load_dwordx4 v[6:9], v[14:15], off offset:128
	ds_read_b128 v[2:5], v240 offset:4320
	ds_write_b128 v240, v[10:13] offset:2880
	s_waitcnt vmcnt(0) lgkmcnt(1)
	v_mul_f64 v[10:11], v[4:5], v[8:9]
	v_mul_f64 v[12:13], v[2:3], v[8:9]
	v_fma_f64 v[10:11], v[2:3], v[6:7], -v[10:11]
	v_fmac_f64_e32 v[12:13], v[4:5], v[6:7]
	global_load_dwordx4 v[6:9], v[14:15], off offset:1568
	ds_read_b128 v[2:5], v240 offset:5760
	ds_write_b128 v240, v[10:13] offset:4320
	s_waitcnt vmcnt(0) lgkmcnt(1)
	v_mul_f64 v[10:11], v[4:5], v[8:9]
	v_mul_f64 v[12:13], v[2:3], v[8:9]
	v_fma_f64 v[10:11], v[2:3], v[6:7], -v[10:11]
	v_fmac_f64_e32 v[12:13], v[4:5], v[6:7]
	global_load_dwordx4 v[6:9], v[14:15], off offset:3008
	ds_read_b128 v[2:5], v240 offset:7200
	v_add_co_u32_e32 v14, vcc, s6, v0
	ds_write_b128 v240, v[10:13] offset:5760
	s_nop 0
	v_addc_co_u32_e32 v15, vcc, 0, v1, vcc
	s_mov_b32 s6, 0x9000
	s_waitcnt vmcnt(0) lgkmcnt(1)
	v_mul_f64 v[10:11], v[4:5], v[8:9]
	v_mul_f64 v[12:13], v[2:3], v[8:9]
	v_fma_f64 v[10:11], v[2:3], v[6:7], -v[10:11]
	v_fmac_f64_e32 v[12:13], v[4:5], v[6:7]
	global_load_dwordx4 v[6:9], v[14:15], off offset:352
	ds_read_b128 v[2:5], v240 offset:8640
	ds_write_b128 v240, v[10:13] offset:7200
	s_waitcnt vmcnt(0) lgkmcnt(1)
	v_mul_f64 v[10:11], v[4:5], v[8:9]
	v_mul_f64 v[12:13], v[2:3], v[8:9]
	v_fma_f64 v[10:11], v[2:3], v[6:7], -v[10:11]
	v_fmac_f64_e32 v[12:13], v[4:5], v[6:7]
	global_load_dwordx4 v[6:9], v[14:15], off offset:1792
	ds_read_b128 v[2:5], v240 offset:10080
	ds_write_b128 v240, v[10:13] offset:8640
	;; [unrolled: 28-line block ×4, first 2 shown]
	s_waitcnt vmcnt(0) lgkmcnt(1)
	v_mul_f64 v[10:11], v[4:5], v[8:9]
	v_mul_f64 v[12:13], v[2:3], v[8:9]
	v_fma_f64 v[10:11], v[2:3], v[6:7], -v[10:11]
	v_fmac_f64_e32 v[12:13], v[4:5], v[6:7]
	global_load_dwordx4 v[6:9], v[14:15], off offset:3680
	ds_read_b128 v[2:5], v240 offset:20160
	ds_write_b128 v240, v[10:13] offset:18720
	s_waitcnt vmcnt(0) lgkmcnt(1)
	v_mul_f64 v[10:11], v[4:5], v[8:9]
	v_mul_f64 v[12:13], v[2:3], v[8:9]
	v_fma_f64 v[10:11], v[2:3], v[6:7], -v[10:11]
	v_fmac_f64_e32 v[12:13], v[4:5], v[6:7]
	ds_write_b128 v240, v[10:13] offset:20160
	v_add_co_u32_e32 v10, vcc, s6, v0
	ds_read_b128 v[2:5], v240 offset:21600
	s_nop 0
	v_addc_co_u32_e32 v11, vcc, 0, v1, vcc
	global_load_dwordx4 v[6:9], v[10:11], off offset:1024
	global_load_dwordx4 v[220:223], v[10:11], off offset:2464
	s_waitcnt vmcnt(1) lgkmcnt(0)
	v_mul_f64 v[0:1], v[4:5], v[8:9]
	v_fma_f64 v[0:1], v[2:3], v[6:7], -v[0:1]
	v_mul_f64 v[2:3], v[2:3], v[8:9]
	v_fmac_f64_e32 v[2:3], v[4:5], v[6:7]
	ds_write_b128 v240, v[0:3] offset:21600
	s_waitcnt vmcnt(0)
	v_mul_f64 v[0:1], v[102:103], v[222:223]
	v_mul_f64 v[2:3], v[100:101], v[222:223]
	v_fma_f64 v[0:1], v[100:101], v[220:221], -v[0:1]
	v_fmac_f64_e32 v[2:3], v[102:103], v[220:221]
	ds_write_b128 v240, v[0:3] offset:23040
.LBB0_13:
	s_or_b64 exec, exec, s[0:1]
	s_waitcnt lgkmcnt(0)
	s_barrier
	s_and_saveexec_b64 s[0:1], s[4:5]
	s_cbranch_execz .LBB0_15
; %bb.14:
	ds_read_b128 v[172:175], v60
	ds_read_b128 v[176:179], v60 offset:1440
	ds_read_b128 v[184:187], v60 offset:2880
	ds_read_b128 v[160:163], v60 offset:4320
	ds_read_b128 v[180:183], v60 offset:5760
	ds_read_b128 v[188:191], v60 offset:7200
	ds_read_b128 v[192:195], v60 offset:8640
	ds_read_b128 v[200:203], v60 offset:10080
	ds_read_b128 v[164:167], v60 offset:11520
	ds_read_b128 v[196:199], v60 offset:12960
	ds_read_b128 v[204:207], v60 offset:14400
	ds_read_b128 v[208:211], v60 offset:15840
	ds_read_b128 v[216:219], v60 offset:17280
	ds_read_b128 v[168:171], v60 offset:18720
	ds_read_b128 v[212:215], v60 offset:20160
	ds_read_b128 v[152:155], v60 offset:21600
	ds_read_b128 v[156:159], v60 offset:23040
.LBB0_15:
	s_or_b64 exec, exec, s[0:1]
	s_mov_b32 s28, 0x5d8e7cdc
	s_waitcnt lgkmcnt(0)
	v_add_f64 v[236:237], v[178:179], -v[158:159]
	s_mov_b32 s0, 0x370991
	s_mov_b32 s29, 0xbfd71e95
	;; [unrolled: 1-line block ×3, first 2 shown]
	v_add_f64 v[242:243], v[176:177], v[156:157]
	v_add_f64 v[26:27], v[178:179], v[158:159]
	s_mov_b32 s1, 0x3fedd6d0
	v_mul_f64 v[36:37], v[236:237], s[28:29]
	s_mov_b32 s16, 0x75d4884
	s_mov_b32 s35, 0xbfe58eea
	v_add_f64 v[238:239], v[186:187], -v[154:155]
	v_add_f64 v[244:245], v[176:177], -v[156:157]
	v_mul_f64 v[38:39], v[26:27], s[0:1]
	v_fma_f64 v[0:1], v[242:243], s[0:1], -v[36:37]
	s_mov_b32 s17, 0x3fe7a5f6
	v_add_f64 v[246:247], v[184:185], v[152:153]
	v_add_f64 v[42:43], v[186:187], v[154:155]
	v_mul_f64 v[48:49], v[238:239], s[34:35]
	s_mov_b32 s22, 0xeb564b22
	v_add_f64 v[0:1], v[172:173], v[0:1]
	v_fma_f64 v[2:3], s[28:29], v[244:245], v[38:39]
	v_mul_f64 v[52:53], v[236:237], s[34:35]
	v_add_f64 v[24:25], v[184:185], -v[152:153]
	v_mul_f64 v[50:51], v[42:43], s[16:17]
	v_fma_f64 v[8:9], v[246:247], s[16:17], -v[48:49]
	s_mov_b32 s18, 0x3259b75e
	s_mov_b32 s23, 0xbfefdd0d
	v_add_f64 v[2:3], v[174:175], v[2:3]
	v_mul_f64 v[62:63], v[26:27], s[16:17]
	v_fma_f64 v[4:5], v[242:243], s[16:17], -v[52:53]
	v_add_f64 v[0:1], v[8:9], v[0:1]
	v_fma_f64 v[8:9], s[34:35], v[24:25], v[50:51]
	s_mov_b32 s19, 0x3fb79ee6
	v_mul_f64 v[64:65], v[238:239], s[22:23]
	v_add_f64 v[4:5], v[172:173], v[4:5]
	v_fma_f64 v[6:7], s[34:35], v[244:245], v[62:63]
	v_add_f64 v[2:3], v[8:9], v[2:3]
	v_mul_f64 v[10:11], v[42:43], s[18:19]
	v_fma_f64 v[8:9], v[246:247], s[18:19], -v[64:65]
	v_add_f64 v[6:7], v[174:175], v[6:7]
	v_add_f64 v[8:9], v[8:9], v[4:5]
	v_fma_f64 v[4:5], s[22:23], v[24:25], v[10:11]
	s_mov_b32 s36, 0x7c9e640b
	v_add_f64 v[6:7], v[4:5], v[6:7]
	v_add_f64 v[4:5], v[162:163], -v[214:215]
	s_mov_b32 s20, 0x2b2883cd
	s_mov_b32 s37, 0xbfeca52d
	v_accvgpr_write_b32 a95, v11
	v_add_f64 v[32:33], v[160:161], v[212:213]
	v_add_f64 v[58:59], v[162:163], v[214:215]
	s_mov_b32 s21, 0x3fdc86fa
	v_mul_f64 v[54:55], v[4:5], s[36:37]
	v_accvgpr_write_b32 a94, v10
	v_add_f64 v[34:35], v[160:161], -v[212:213]
	v_mul_f64 v[66:67], v[58:59], s[20:21]
	v_fma_f64 v[10:11], v[32:33], s[20:21], -v[54:55]
	s_mov_b32 s26, 0x6c9a05f6
	v_add_f64 v[0:1], v[10:11], v[0:1]
	v_fma_f64 v[10:11], s[36:37], v[34:35], v[66:67]
	s_mov_b32 s27, 0xbfe9895b
	v_add_f64 v[2:3], v[10:11], v[2:3]
	s_mov_b32 s30, 0x6ed5f1bb
	v_mul_f64 v[10:11], v[4:5], s[26:27]
	s_mov_b32 s31, 0xbfe348c8
	v_accvgpr_write_b32 a99, v11
	v_mul_f64 v[12:13], v[58:59], s[30:31]
	v_accvgpr_write_b32 a98, v10
	v_fma_f64 v[10:11], v[32:33], s[30:31], -v[10:11]
	v_add_f64 v[10:11], v[10:11], v[8:9]
	v_accvgpr_write_b32 a103, v13
	v_fma_f64 v[8:9], s[26:27], v[34:35], v[12:13]
	v_accvgpr_write_b32 a102, v12
	v_add_f64 v[12:13], v[8:9], v[6:7]
	v_add_f64 v[8:9], v[182:183], -v[170:171]
	v_mul_f64 v[14:15], v[8:9], s[22:23]
	v_add_f64 v[40:41], v[180:181], v[168:169]
	v_add_f64 v[6:7], v[182:183], v[170:171]
	v_accvgpr_write_b32 a93, v15
	v_add_f64 v[44:45], v[180:181], -v[168:169]
	v_mul_f64 v[16:17], v[6:7], s[18:19]
	v_accvgpr_write_b32 a92, v14
	v_fma_f64 v[14:15], v[40:41], s[18:19], -v[14:15]
	v_add_f64 v[0:1], v[14:15], v[0:1]
	v_fma_f64 v[14:15], s[22:23], v[44:45], v[16:17]
	s_mov_b32 s55, 0xbfc7851a
	s_mov_b32 s54, 0xacd6c6b4
	v_add_f64 v[2:3], v[14:15], v[2:3]
	s_mov_b32 s24, 0x7faef3
	v_mul_f64 v[14:15], v[8:9], s[54:55]
	v_accvgpr_write_b32 a97, v17
	s_mov_b32 s25, 0xbfef7484
	v_accvgpr_write_b32 a105, v15
	v_accvgpr_write_b32 a96, v16
	v_mul_f64 v[16:17], v[6:7], s[24:25]
	v_accvgpr_write_b32 a104, v14
	v_fma_f64 v[14:15], v[40:41], s[24:25], -v[14:15]
	v_add_f64 v[14:15], v[14:15], v[10:11]
	v_accvgpr_write_b32 a111, v17
	v_fma_f64 v[10:11], s[54:55], v[44:45], v[16:17]
	s_mov_b32 s42, 0x923c349f
	v_accvgpr_write_b32 a110, v16
	v_add_f64 v[16:17], v[10:11], v[12:13]
	v_add_f64 v[12:13], v[190:191], -v[218:219]
	s_mov_b32 s43, 0xbfeec746
	s_mov_b32 s38, 0xc61f0d01
	v_mul_f64 v[18:19], v[12:13], s[42:43]
	v_add_f64 v[46:47], v[188:189], v[216:217]
	v_add_f64 v[10:11], v[190:191], v[218:219]
	s_mov_b32 s39, 0xbfd183b1
	v_accvgpr_write_b32 a101, v19
	v_add_f64 v[56:57], v[188:189], -v[216:217]
	v_mul_f64 v[20:21], v[10:11], s[38:39]
	v_accvgpr_write_b32 a100, v18
	v_fma_f64 v[18:19], v[46:47], s[38:39], -v[18:19]
	s_mov_b32 s44, 0x4363dd80
	v_add_f64 v[0:1], v[18:19], v[0:1]
	v_fma_f64 v[18:19], s[42:43], v[56:57], v[20:21]
	s_mov_b32 s45, 0x3fe0d888
	v_add_f64 v[2:3], v[18:19], v[2:3]
	s_mov_b32 s40, 0x910ea3b9
	v_mul_f64 v[18:19], v[12:13], s[44:45]
	v_accvgpr_write_b32 a107, v21
	s_mov_b32 s41, 0xbfeb34fa
	v_accvgpr_write_b32 a125, v19
	v_accvgpr_write_b32 a106, v20
	v_mul_f64 v[20:21], v[10:11], s[40:41]
	v_accvgpr_write_b32 a124, v18
	v_fma_f64 v[18:19], v[46:47], s[40:41], -v[18:19]
	v_add_f64 v[18:19], v[18:19], v[14:15]
	v_accvgpr_write_b32 a133, v21
	v_fma_f64 v[14:15], s[44:45], v[56:57], v[20:21]
	v_accvgpr_write_b32 a132, v20
	v_add_f64 v[20:21], v[14:15], v[16:17]
	v_add_f64 v[16:17], v[194:195], -v[210:211]
	v_mul_f64 v[22:23], v[16:17], s[26:27]
	v_add_f64 v[248:249], v[192:193], v[208:209]
	v_add_f64 v[14:15], v[194:195], v[210:211]
	v_accvgpr_write_b32 a109, v23
	v_add_f64 v[250:251], v[192:193], -v[208:209]
	v_mul_f64 v[28:29], v[14:15], s[30:31]
	v_accvgpr_write_b32 a108, v22
	v_fma_f64 v[22:23], v[248:249], s[30:31], -v[22:23]
	v_add_f64 v[0:1], v[22:23], v[0:1]
	v_fma_f64 v[22:23], s[26:27], v[250:251], v[28:29]
	s_mov_b32 s47, 0x3feec746
	s_mov_b32 s46, s42
	v_add_f64 v[2:3], v[22:23], v[2:3]
	v_mul_f64 v[22:23], v[16:17], s[46:47]
	v_accvgpr_write_b32 a113, v29
	v_accvgpr_write_b32 a131, v23
	;; [unrolled: 1-line block ×3, first 2 shown]
	v_mul_f64 v[28:29], v[14:15], s[38:39]
	v_accvgpr_write_b32 a130, v22
	v_fma_f64 v[22:23], v[248:249], s[38:39], -v[22:23]
	v_add_f64 v[22:23], v[22:23], v[18:19]
	v_accvgpr_write_b32 a139, v29
	v_fma_f64 v[18:19], s[46:47], v[250:251], v[28:29]
	v_accvgpr_write_b32 a138, v28
	v_add_f64 v[28:29], v[18:19], v[20:21]
	v_add_f64 v[20:21], v[202:203], -v[206:207]
	s_mov_b32 s49, 0xbfe0d888
	s_mov_b32 s48, s44
	v_mul_f64 v[30:31], v[20:21], s[48:49]
	v_add_f64 v[252:253], v[200:201], v[204:205]
	v_add_f64 v[18:19], v[202:203], v[206:207]
	v_accvgpr_write_b32 a115, v31
	v_add_f64 v[254:255], v[200:201], -v[204:205]
	v_mul_f64 v[100:101], v[18:19], s[40:41]
	v_accvgpr_write_b32 a114, v30
	v_fma_f64 v[30:31], v[252:253], s[40:41], -v[30:31]
	v_add_f64 v[30:31], v[30:31], v[0:1]
	v_accvgpr_write_b32 a127, v101
	v_fma_f64 v[0:1], s[48:49], v[254:255], v[100:101]
	s_mov_b32 s51, 0x3feca52d
	s_mov_b32 s50, s36
	v_accvgpr_write_b32 a126, v100
	v_add_f64 v[100:101], v[0:1], v[2:3]
	v_mul_f64 v[0:1], v[20:21], s[50:51]
	v_accvgpr_write_b32 a137, v1
	v_mul_f64 v[2:3], v[18:19], s[20:21]
	v_accvgpr_write_b32 a136, v0
	v_fma_f64 v[0:1], v[252:253], s[20:21], -v[0:1]
	v_add_f64 v[102:103], v[0:1], v[22:23]
	v_fma_f64 v[0:1], s[50:51], v[254:255], v[2:3]
	v_add_f64 v[222:223], v[0:1], v[28:29]
	v_add_f64 v[28:29], v[166:167], -v[198:199]
	v_mul_f64 v[220:221], v[28:29], s[54:55]
	v_accvgpr_write_b32 a141, v3
	v_add_f64 v[0:1], v[164:165], v[196:197]
	v_add_f64 v[22:23], v[166:167], v[198:199]
	v_accvgpr_write_b32 a128, v220
	v_accvgpr_write_b32 a140, v2
	v_add_f64 v[2:3], v[164:165], -v[196:197]
	v_mul_f64 v[226:227], v[22:23], s[24:25]
	v_accvgpr_write_b32 a129, v221
	v_fma_f64 v[220:221], v[0:1], s[24:25], -v[220:221]
	v_add_f64 v[224:225], v[220:221], v[30:31]
	v_accvgpr_write_b32 a134, v226
	v_fma_f64 v[30:31], s[54:55], v[2:3], v[226:227]
	s_mov_b32 s53, 0x3fd71e95
	s_mov_b32 s52, s28
	v_accvgpr_write_b32 a135, v227
	v_add_f64 v[226:227], v[30:31], v[100:101]
	v_mul_f64 v[100:101], v[28:29], s[52:53]
	v_mul_f64 v[74:75], v[22:23], s[0:1]
	v_fma_f64 v[30:31], v[0:1], s[0:1], -v[100:101]
	v_add_f64 v[220:221], v[30:31], v[102:103]
	v_accvgpr_write_b32 a149, v75
	v_fma_f64 v[30:31], s[52:53], v[2:3], v[74:75]
	v_accvgpr_write_b32 a148, v74
	v_add_f64 v[222:223], v[30:31], v[222:223]
	s_barrier
	s_and_saveexec_b64 s[6:7], s[4:5]
	s_cbranch_execz .LBB0_17
; %bb.16:
	v_accvgpr_write_b32 a165, v65
	v_accvgpr_write_b32 a163, v53
	;; [unrolled: 1-line block ×3, first 2 shown]
	v_mul_f64 v[64:65], v[244:245], s[54:55]
	v_accvgpr_write_b32 a159, v67
	v_accvgpr_write_b32 a145, v49
	;; [unrolled: 1-line block ×3, first 2 shown]
	v_mul_f64 v[52:53], v[24:25], s[52:53]
	v_accvgpr_write_b32 a147, v55
	v_accvgpr_write_b32 a158, v66
	v_fma_f64 v[66:67], s[24:25], v[26:27], v[64:65]
	s_mov_b32 s57, 0x3fe58eea
	s_mov_b32 s56, s34
	v_accvgpr_write_b32 a143, v37
	v_accvgpr_write_b32 a144, v48
	v_mul_f64 v[48:49], v[34:35], s[48:49]
	v_accvgpr_write_b32 a153, v51
	v_accvgpr_write_b32 a146, v54
	v_fma_f64 v[54:55], s[0:1], v[42:43], v[52:53]
	v_add_f64 v[66:67], v[174:175], v[66:67]
	v_accvgpr_write_b32 a8, v232
	v_accvgpr_write_b32 a142, v36
	v_mul_f64 v[36:37], v[44:45], s[56:57]
	v_accvgpr_write_b32 a151, v39
	v_accvgpr_write_b32 a152, v50
	v_fma_f64 v[50:51], s[40:41], v[58:59], v[48:49]
	v_add_f64 v[54:55], v[54:55], v[66:67]
	v_accvgpr_write_b32 a4, v228
	v_accvgpr_write_b32 a9, v233
	;; [unrolled: 1-line block ×4, first 2 shown]
	v_mul_f64 v[234:235], v[56:57], s[26:27]
	v_accvgpr_write_b32 a167, v63
	v_accvgpr_write_b32 a150, v38
	v_fma_f64 v[38:39], s[16:17], v[6:7], v[36:37]
	v_add_f64 v[50:51], v[50:51], v[54:55]
	v_mul_f64 v[74:75], v[236:237], s[54:55]
	v_accvgpr_write_b32 a5, v229
	v_accvgpr_write_b32 a6, v230
	;; [unrolled: 1-line block ×3, first 2 shown]
	v_mul_f64 v[230:231], v[250:251], s[50:51]
	v_accvgpr_write_b32 a166, v62
	v_fma_f64 v[62:63], s[30:31], v[10:11], v[234:235]
	v_add_f64 v[38:39], v[38:39], v[50:51]
	v_accvgpr_write_b32 a3, v70
	v_accvgpr_write_b32 a64, v71
	v_mul_f64 v[70:71], v[238:239], s[52:53]
	v_fma_f64 v[76:77], v[242:243], s[24:25], -v[74:75]
	v_mul_f64 v[102:103], v[254:255], s[42:43]
	v_fma_f64 v[232:233], s[20:21], v[14:15], v[230:231]
	v_add_f64 v[38:39], v[62:63], v[38:39]
	v_mov_b32_e32 v241, v68
	v_accvgpr_write_b32 a1, v69
	v_mul_f64 v[68:69], v[4:5], s[48:49]
	v_accvgpr_write_b32 a65, v72
	v_fma_f64 v[72:73], v[246:247], s[0:1], -v[70:71]
	v_add_f64 v[76:77], v[172:173], v[76:77]
	s_mov_b32 s61, 0x3fefdd0d
	s_mov_b32 s60, s22
	v_fma_f64 v[228:229], s[38:39], v[18:19], v[102:103]
	v_add_f64 v[38:39], v[232:233], v[38:39]
	v_mul_f64 v[232:233], v[8:9], s[56:57]
	v_add_f64 v[72:73], v[72:73], v[76:77]
	v_fma_f64 v[76:77], v[32:33], s[40:41], -v[68:69]
	v_mul_f64 v[30:31], v[2:3], s[60:61]
	v_accvgpr_write_b32 a161, v101
	v_add_f64 v[38:39], v[228:229], v[38:39]
	v_mul_f64 v[228:229], v[12:13], s[26:27]
	v_add_f64 v[72:73], v[76:77], v[72:73]
	v_fma_f64 v[76:77], v[40:41], s[16:17], -v[232:233]
	v_fma_f64 v[64:65], v[26:27], s[24:25], -v[64:65]
	v_accvgpr_write_b32 a160, v100
	v_fma_f64 v[100:101], s[18:19], v[22:23], v[30:31]
	v_accvgpr_write_b32 a123, v83
	v_mul_f64 v[66:67], v[16:17], s[50:51]
	v_add_f64 v[72:73], v[76:77], v[72:73]
	v_fma_f64 v[76:77], v[46:47], s[30:31], -v[228:229]
	v_fma_f64 v[52:53], v[42:43], s[0:1], -v[52:53]
	v_add_f64 v[64:65], v[174:175], v[64:65]
	v_accvgpr_write_b32 a122, v82
	v_accvgpr_write_b32 a121, v81
	;; [unrolled: 1-line block ×3, first 2 shown]
	v_add_f64 v[82:83], v[100:101], v[38:39]
	v_mul_f64 v[54:55], v[20:21], s[42:43]
	v_fma_f64 v[100:101], v[248:249], s[20:21], -v[66:67]
	v_add_f64 v[72:73], v[76:77], v[72:73]
	v_fma_f64 v[48:49], v[58:59], s[40:41], -v[48:49]
	v_add_f64 v[52:53], v[52:53], v[64:65]
	v_mul_f64 v[38:39], v[28:29], s[60:61]
	v_fma_f64 v[62:63], v[252:253], s[38:39], -v[54:55]
	v_add_f64 v[72:73], v[100:101], v[72:73]
	v_fma_f64 v[36:37], v[6:7], s[16:17], -v[36:37]
	v_add_f64 v[48:49], v[48:49], v[52:53]
	;; [unrolled: 2-line block ×4, first 2 shown]
	v_add_f64 v[80:81], v[50:51], v[62:63]
	v_fma_f64 v[62:63], v[14:15], s[20:21], -v[230:231]
	v_add_f64 v[36:37], v[72:73], v[36:37]
	v_fma_f64 v[50:51], v[18:19], s[38:39], -v[102:103]
	;; [unrolled: 2-line block ×3, first 2 shown]
	v_add_f64 v[36:37], v[50:51], v[36:37]
	v_fmac_f64_e32 v[74:75], s[24:25], v[242:243]
	v_add_f64 v[50:51], v[30:31], v[36:37]
	v_fmac_f64_e32 v[70:71], s[0:1], v[246:247]
	;; [unrolled: 2-line block ×5, first 2 shown]
	v_add_f64 v[30:31], v[232:233], v[30:31]
	v_mul_f64 v[76:77], v[244:245], s[48:49]
	v_fmac_f64_e32 v[66:67], s[20:21], v[248:249]
	v_add_f64 v[30:31], v[228:229], v[30:31]
	v_mul_f64 v[72:73], v[24:25], s[50:51]
	v_accvgpr_write_b32 a86, v78
	v_accvgpr_write_b32 a87, v79
	v_fma_f64 v[78:79], s[40:41], v[26:27], v[76:77]
	v_accvgpr_write_b32 a119, v83
	v_fmac_f64_e32 v[54:55], s[38:39], v[252:253]
	v_add_f64 v[30:31], v[66:67], v[30:31]
	s_mov_b32 s59, 0x3fe9895b
	s_mov_b32 s58, s26
	v_mul_f64 v[68:69], v[34:35], s[22:23]
	v_fma_f64 v[74:75], s[20:21], v[42:43], v[72:73]
	v_add_f64 v[78:79], v[174:175], v[78:79]
	v_accvgpr_write_b32 a118, v82
	v_accvgpr_write_b32 a117, v81
	;; [unrolled: 1-line block ×3, first 2 shown]
	v_accvgpr_read_b32 v80, a120
	v_fmac_f64_e32 v[38:39], s[18:19], v[0:1]
	v_add_f64 v[30:31], v[54:55], v[30:31]
	v_mul_f64 v[64:65], v[44:45], s[58:59]
	v_fma_f64 v[70:71], s[18:19], v[58:59], v[68:69]
	v_add_f64 v[74:75], v[74:75], v[78:79]
	v_accvgpr_read_b32 v81, a121
	v_accvgpr_read_b32 v82, a122
	v_accvgpr_read_b32 v83, a123
	v_add_f64 v[48:49], v[38:39], v[30:31]
	v_accvgpr_write_b32 a123, v51
	v_mul_f64 v[54:55], v[56:57], s[28:29]
	v_fma_f64 v[66:67], s[30:31], v[6:7], v[64:65]
	v_add_f64 v[70:71], v[70:71], v[74:75]
	v_mul_f64 v[78:79], v[236:237], s[48:49]
	v_accvgpr_write_b32 a122, v50
	v_accvgpr_write_b32 a121, v49
	;; [unrolled: 1-line block ×3, first 2 shown]
	v_mul_f64 v[50:51], v[250:251], s[54:55]
	v_fma_f64 v[62:63], s[0:1], v[10:11], v[54:55]
	v_add_f64 v[66:67], v[66:67], v[70:71]
	v_mul_f64 v[70:71], v[238:239], s[50:51]
	v_fma_f64 v[100:101], v[242:243], s[40:41], -v[78:79]
	v_mul_f64 v[38:39], v[254:255], s[56:57]
	v_fma_f64 v[52:53], s[24:25], v[14:15], v[50:51]
	v_add_f64 v[62:63], v[62:63], v[66:67]
	v_mul_f64 v[66:67], v[4:5], s[22:23]
	v_fma_f64 v[74:75], v[246:247], s[20:21], -v[70:71]
	v_add_f64 v[100:101], v[172:173], v[100:101]
	v_mul_f64 v[30:31], v[2:3], s[42:43]
	v_fma_f64 v[48:49], s[16:17], v[18:19], v[38:39]
	v_add_f64 v[52:53], v[52:53], v[62:63]
	v_mul_f64 v[62:63], v[8:9], s[58:59]
	v_add_f64 v[74:75], v[74:75], v[100:101]
	v_fma_f64 v[100:101], v[32:33], s[18:19], -v[66:67]
	v_fma_f64 v[36:37], s[38:39], v[22:23], v[30:31]
	v_add_f64 v[48:49], v[48:49], v[52:53]
	v_mul_f64 v[52:53], v[12:13], s[28:29]
	v_add_f64 v[74:75], v[100:101], v[74:75]
	v_fma_f64 v[100:101], v[40:41], s[30:31], -v[62:63]
	v_add_f64 v[230:231], v[36:37], v[48:49]
	v_mul_f64 v[48:49], v[16:17], s[54:55]
	v_add_f64 v[74:75], v[100:101], v[74:75]
	v_fma_f64 v[100:101], v[46:47], s[0:1], -v[52:53]
	v_mul_f64 v[36:37], v[20:21], s[56:57]
	v_add_f64 v[74:75], v[100:101], v[74:75]
	v_fma_f64 v[100:101], v[248:249], s[24:25], -v[48:49]
	v_add_f64 v[74:75], v[100:101], v[74:75]
	v_fma_f64 v[100:101], v[252:253], s[16:17], -v[36:37]
	v_add_f64 v[74:75], v[100:101], v[74:75]
	v_mul_f64 v[100:101], v[28:29], s[42:43]
	v_fma_f64 v[102:103], v[0:1], s[38:39], -v[100:101]
	v_add_f64 v[228:229], v[102:103], v[74:75]
	v_fma_f64 v[74:75], v[26:27], s[40:41], -v[76:77]
	v_fma_f64 v[72:73], v[42:43], s[20:21], -v[72:73]
	v_add_f64 v[74:75], v[174:175], v[74:75]
	v_fma_f64 v[68:69], v[58:59], s[18:19], -v[68:69]
	v_add_f64 v[72:73], v[72:73], v[74:75]
	;; [unrolled: 2-line block ×7, first 2 shown]
	v_fmac_f64_e32 v[78:79], s[40:41], v[242:243]
	v_add_f64 v[38:39], v[30:31], v[38:39]
	v_fmac_f64_e32 v[70:71], s[20:21], v[246:247]
	v_add_f64 v[30:31], v[172:173], v[78:79]
	;; [unrolled: 2-line block ×5, first 2 shown]
	v_mul_f64 v[72:73], v[244:245], s[26:27]
	v_fmac_f64_e32 v[48:49], s[24:25], v[248:249]
	v_add_f64 v[30:31], v[52:53], v[30:31]
	v_mul_f64 v[68:69], v[24:25], s[46:47]
	v_fma_f64 v[74:75], s[30:31], v[26:27], v[72:73]
	v_fmac_f64_e32 v[36:37], s[16:17], v[252:253]
	v_add_f64 v[30:31], v[48:49], v[30:31]
	v_mul_f64 v[64:65], v[34:35], s[28:29]
	v_fma_f64 v[70:71], s[38:39], v[42:43], v[68:69]
	v_add_f64 v[74:75], v[174:175], v[74:75]
	v_fmac_f64_e32 v[100:101], s[38:39], v[0:1]
	v_add_f64 v[30:31], v[36:37], v[30:31]
	v_mul_f64 v[54:55], v[44:45], s[48:49]
	v_fma_f64 v[66:67], s[0:1], v[58:59], v[64:65]
	v_add_f64 v[70:71], v[70:71], v[74:75]
	v_add_f64 v[36:37], v[100:101], v[30:31]
	v_accvgpr_write_b32 a171, v39
	v_mul_f64 v[50:51], v[56:57], s[60:61]
	v_fma_f64 v[62:63], s[40:41], v[6:7], v[54:55]
	v_add_f64 v[66:67], v[66:67], v[70:71]
	v_mul_f64 v[74:75], v[236:237], s[26:27]
	v_accvgpr_write_b32 a170, v38
	v_accvgpr_write_b32 a169, v37
	;; [unrolled: 1-line block ×3, first 2 shown]
	v_mul_f64 v[38:39], v[250:251], s[34:35]
	v_fma_f64 v[52:53], s[18:19], v[10:11], v[50:51]
	v_add_f64 v[62:63], v[62:63], v[66:67]
	v_mul_f64 v[66:67], v[238:239], s[46:47]
	v_fma_f64 v[76:77], v[242:243], s[30:31], -v[74:75]
	v_mul_f64 v[30:31], v[254:255], s[54:55]
	v_fma_f64 v[48:49], s[16:17], v[14:15], v[38:39]
	v_add_f64 v[52:53], v[52:53], v[62:63]
	v_mul_f64 v[62:63], v[4:5], s[28:29]
	v_fma_f64 v[70:71], v[246:247], s[38:39], -v[66:67]
	v_add_f64 v[76:77], v[172:173], v[76:77]
	v_fma_f64 v[36:37], s[24:25], v[18:19], v[30:31]
	v_add_f64 v[48:49], v[48:49], v[52:53]
	v_mul_f64 v[52:53], v[8:9], s[48:49]
	v_add_f64 v[70:71], v[70:71], v[76:77]
	v_fma_f64 v[76:77], v[32:33], s[0:1], -v[62:63]
	v_add_f64 v[36:37], v[36:37], v[48:49]
	v_mul_f64 v[48:49], v[12:13], s[60:61]
	v_add_f64 v[70:71], v[76:77], v[70:71]
	v_fma_f64 v[76:77], v[40:41], s[40:41], -v[52:53]
	v_add_f64 v[70:71], v[76:77], v[70:71]
	v_fma_f64 v[76:77], v[46:47], s[18:19], -v[48:49]
	v_add_f64 v[70:71], v[76:77], v[70:71]
	v_mul_f64 v[76:77], v[16:17], s[34:35]
	v_fma_f64 v[78:79], v[248:249], s[16:17], -v[76:77]
	v_add_f64 v[70:71], v[78:79], v[70:71]
	v_mul_f64 v[78:79], v[20:21], s[54:55]
	;; [unrolled: 3-line block ×3, first 2 shown]
	v_accvgpr_write_b32 a154, v228
	v_fma_f64 v[102:103], s[20:21], v[22:23], v[100:101]
	v_accvgpr_write_b32 a155, v229
	v_accvgpr_write_b32 a156, v230
	;; [unrolled: 1-line block ×3, first 2 shown]
	v_add_f64 v[230:231], v[102:103], v[36:37]
	v_mul_f64 v[36:37], v[28:29], s[50:51]
	v_fma_f64 v[102:103], v[0:1], s[20:21], -v[36:37]
	v_add_f64 v[228:229], v[102:103], v[70:71]
	v_fma_f64 v[70:71], v[26:27], s[30:31], -v[72:73]
	v_fma_f64 v[68:69], v[42:43], s[38:39], -v[68:69]
	v_add_f64 v[70:71], v[174:175], v[70:71]
	v_add_f64 v[68:69], v[68:69], v[70:71]
	v_fma_f64 v[64:65], v[58:59], s[0:1], -v[64:65]
	v_add_f64 v[64:65], v[64:65], v[68:69]
	v_fma_f64 v[54:55], v[6:7], s[40:41], -v[54:55]
	;; [unrolled: 2-line block ×3, first 2 shown]
	v_fma_f64 v[38:39], v[14:15], s[16:17], -v[38:39]
	v_add_f64 v[50:51], v[50:51], v[54:55]
	v_fma_f64 v[30:31], v[18:19], s[24:25], -v[30:31]
	v_add_f64 v[38:39], v[38:39], v[50:51]
	;; [unrolled: 2-line block ×3, first 2 shown]
	v_fmac_f64_e32 v[74:75], s[30:31], v[242:243]
	v_add_f64 v[38:39], v[64:65], v[30:31]
	v_fmac_f64_e32 v[66:67], s[38:39], v[246:247]
	v_add_f64 v[30:31], v[172:173], v[74:75]
	;; [unrolled: 2-line block ×5, first 2 shown]
	v_mul_f64 v[66:67], v[244:245], s[42:43]
	v_fmac_f64_e32 v[76:77], s[16:17], v[248:249]
	v_add_f64 v[30:31], v[48:49], v[30:31]
	v_mul_f64 v[62:63], v[24:25], s[44:45]
	v_fma_f64 v[68:69], s[38:39], v[26:27], v[66:67]
	v_fmac_f64_e32 v[78:79], s[24:25], v[252:253]
	v_add_f64 v[30:31], v[76:77], v[30:31]
	v_mul_f64 v[54:55], v[34:35], s[56:57]
	v_fma_f64 v[64:65], s[40:41], v[42:43], v[62:63]
	v_add_f64 v[68:69], v[174:175], v[68:69]
	v_fmac_f64_e32 v[36:37], s[20:21], v[0:1]
	v_add_f64 v[30:31], v[78:79], v[30:31]
	v_mul_f64 v[52:53], v[44:45], s[36:37]
	v_add_f64 v[64:65], v[64:65], v[68:69]
	v_fma_f64 v[68:69], s[16:17], v[58:59], v[54:55]
	v_add_f64 v[36:37], v[36:37], v[30:31]
	v_accvgpr_write_b32 a179, v39
	v_mul_f64 v[50:51], v[56:57], s[54:55]
	v_add_f64 v[64:65], v[68:69], v[64:65]
	v_fma_f64 v[68:69], s[20:21], v[6:7], v[52:53]
	v_accvgpr_write_b32 a178, v38
	v_accvgpr_write_b32 a177, v37
	v_accvgpr_write_b32 a176, v36
	v_mul_f64 v[38:39], v[250:251], s[60:61]
	v_add_f64 v[64:65], v[68:69], v[64:65]
	v_fma_f64 v[68:69], s[24:25], v[10:11], v[50:51]
	v_mul_f64 v[30:31], v[254:255], s[28:29]
	v_fma_f64 v[48:49], s[18:19], v[14:15], v[38:39]
	v_add_f64 v[64:65], v[68:69], v[64:65]
	v_fma_f64 v[36:37], s[0:1], v[18:19], v[30:31]
	v_add_f64 v[48:49], v[48:49], v[64:65]
	v_mul_f64 v[64:65], v[236:237], s[42:43]
	v_add_f64 v[36:37], v[36:37], v[48:49]
	v_mul_f64 v[48:49], v[238:239], s[44:45]
	v_fma_f64 v[68:69], v[242:243], s[38:39], -v[64:65]
	v_add_f64 v[68:69], v[172:173], v[68:69]
	v_fma_f64 v[70:71], v[246:247], s[40:41], -v[48:49]
	v_add_f64 v[68:69], v[70:71], v[68:69]
	v_mul_f64 v[70:71], v[4:5], s[56:57]
	v_fma_f64 v[72:73], v[32:33], s[16:17], -v[70:71]
	v_add_f64 v[68:69], v[72:73], v[68:69]
	v_mul_f64 v[72:73], v[8:9], s[36:37]
	;; [unrolled: 3-line block ×3, first 2 shown]
	v_fma_f64 v[76:77], v[46:47], s[24:25], -v[74:75]
	v_fma_f64 v[66:67], v[26:27], s[38:39], -v[66:67]
	v_add_f64 v[68:69], v[76:77], v[68:69]
	v_mul_f64 v[76:77], v[16:17], s[60:61]
	v_fma_f64 v[62:63], v[42:43], s[40:41], -v[62:63]
	v_add_f64 v[66:67], v[174:175], v[66:67]
	v_fma_f64 v[78:79], v[248:249], s[18:19], -v[76:77]
	v_add_f64 v[62:63], v[62:63], v[66:67]
	;; [unrolled: 2-line block ×3, first 2 shown]
	v_mul_f64 v[78:79], v[20:21], s[28:29]
	v_add_f64 v[54:55], v[54:55], v[62:63]
	v_fma_f64 v[52:53], v[6:7], s[20:21], -v[52:53]
	v_fma_f64 v[100:101], v[252:253], s[0:1], -v[78:79]
	v_add_f64 v[52:53], v[52:53], v[54:55]
	v_fma_f64 v[50:51], v[10:11], s[24:25], -v[50:51]
	v_add_f64 v[68:69], v[100:101], v[68:69]
	v_mul_f64 v[100:101], v[2:3], s[26:27]
	v_add_f64 v[50:51], v[50:51], v[52:53]
	v_fma_f64 v[38:39], v[14:15], s[18:19], -v[38:39]
	v_accvgpr_write_b32 a172, v228
	v_fma_f64 v[102:103], s[30:31], v[22:23], v[100:101]
	v_add_f64 v[38:39], v[38:39], v[50:51]
	v_fma_f64 v[30:31], v[18:19], s[0:1], -v[30:31]
	v_fmac_f64_e32 v[64:65], s[38:39], v[242:243]
	v_accvgpr_write_b32 a173, v229
	v_accvgpr_write_b32 a174, v230
	;; [unrolled: 1-line block ×3, first 2 shown]
	v_add_f64 v[230:231], v[102:103], v[36:37]
	v_mul_f64 v[36:37], v[28:29], s[26:27]
	v_add_f64 v[30:31], v[30:31], v[38:39]
	v_fmac_f64_e32 v[48:49], s[40:41], v[246:247]
	v_add_f64 v[38:39], v[172:173], v[64:65]
	v_fma_f64 v[102:103], v[0:1], s[30:31], -v[36:37]
	v_add_f64 v[38:39], v[48:49], v[38:39]
	v_fma_f64 v[48:49], v[22:23], s[30:31], -v[100:101]
	v_fmac_f64_e32 v[70:71], s[16:17], v[32:33]
	v_add_f64 v[228:229], v[102:103], v[68:69]
	v_add_f64 v[102:103], v[48:49], v[30:31]
	v_fmac_f64_e32 v[72:73], s[20:21], v[40:41]
	v_add_f64 v[30:31], v[70:71], v[38:39]
	v_fmac_f64_e32 v[74:75], s[24:25], v[46:47]
	;; [unrolled: 2-line block ×3, first 2 shown]
	v_add_f64 v[30:31], v[74:75], v[30:31]
	v_mul_f64 v[52:53], v[244:245], s[22:23]
	v_fmac_f64_e32 v[78:79], s[0:1], v[252:253]
	v_add_f64 v[30:31], v[76:77], v[30:31]
	v_mul_f64 v[48:49], v[24:25], s[54:55]
	v_fma_f64 v[54:55], s[18:19], v[26:27], v[52:53]
	v_fmac_f64_e32 v[36:37], s[30:31], v[0:1]
	v_add_f64 v[30:31], v[78:79], v[30:31]
	v_mul_f64 v[38:39], v[34:35], s[46:47]
	v_fma_f64 v[50:51], s[24:25], v[42:43], v[48:49]
	v_add_f64 v[54:55], v[174:175], v[54:55]
	v_add_f64 v[100:101], v[36:37], v[30:31]
	v_mul_f64 v[36:37], v[44:45], s[52:53]
	v_add_f64 v[50:51], v[50:51], v[54:55]
	v_fma_f64 v[54:55], s[38:39], v[58:59], v[38:39]
	v_mul_f64 v[30:31], v[56:57], s[36:37]
	v_add_f64 v[50:51], v[54:55], v[50:51]
	v_fma_f64 v[54:55], s[0:1], v[6:7], v[36:37]
	v_add_f64 v[50:51], v[54:55], v[50:51]
	v_fma_f64 v[54:55], s[20:21], v[10:11], v[30:31]
	v_add_f64 v[50:51], v[54:55], v[50:51]
	v_mul_f64 v[54:55], v[250:251], s[48:49]
	v_fma_f64 v[62:63], s[40:41], v[14:15], v[54:55]
	v_add_f64 v[50:51], v[62:63], v[50:51]
	v_mul_f64 v[62:63], v[254:255], s[58:59]
	;; [unrolled: 3-line block ×3, first 2 shown]
	v_fma_f64 v[66:67], v[242:243], s[18:19], -v[64:65]
	v_mul_f64 v[68:69], v[238:239], s[54:55]
	v_add_f64 v[66:67], v[172:173], v[66:67]
	v_fma_f64 v[70:71], v[246:247], s[24:25], -v[68:69]
	v_fma_f64 v[52:53], v[26:27], s[18:19], -v[52:53]
	v_add_f64 v[66:67], v[70:71], v[66:67]
	v_mul_f64 v[70:71], v[4:5], s[46:47]
	v_fma_f64 v[48:49], v[42:43], s[24:25], -v[48:49]
	v_add_f64 v[52:53], v[174:175], v[52:53]
	v_fma_f64 v[72:73], v[32:33], s[38:39], -v[70:71]
	v_add_f64 v[48:49], v[48:49], v[52:53]
	;; [unrolled: 2-line block ×3, first 2 shown]
	v_mul_f64 v[72:73], v[8:9], s[52:53]
	v_add_f64 v[38:39], v[38:39], v[48:49]
	v_fma_f64 v[36:37], v[6:7], s[0:1], -v[36:37]
	v_fma_f64 v[74:75], v[40:41], s[0:1], -v[72:73]
	v_add_f64 v[36:37], v[36:37], v[38:39]
	v_fma_f64 v[30:31], v[10:11], s[20:21], -v[30:31]
	v_add_f64 v[66:67], v[74:75], v[66:67]
	v_mul_f64 v[74:75], v[12:13], s[36:37]
	v_add_f64 v[30:31], v[30:31], v[36:37]
	v_fma_f64 v[36:37], v[14:15], s[40:41], -v[54:55]
	v_fma_f64 v[76:77], v[46:47], s[20:21], -v[74:75]
	v_add_f64 v[30:31], v[36:37], v[30:31]
	v_fma_f64 v[36:37], v[18:19], s[30:31], -v[62:63]
	v_fmac_f64_e32 v[64:65], s[18:19], v[242:243]
	v_add_f64 v[66:67], v[76:77], v[66:67]
	v_mul_f64 v[76:77], v[16:17], s[48:49]
	v_add_f64 v[30:31], v[36:37], v[30:31]
	v_fmac_f64_e32 v[68:69], s[24:25], v[246:247]
	v_add_f64 v[36:37], v[172:173], v[64:65]
	v_fma_f64 v[78:79], v[248:249], s[40:41], -v[76:77]
	v_add_f64 v[36:37], v[68:69], v[36:37]
	v_fmac_f64_e32 v[70:71], s[38:39], v[32:33]
	v_accvgpr_write_b32 a180, v228
	v_add_f64 v[66:67], v[78:79], v[66:67]
	v_mul_f64 v[78:79], v[20:21], s[58:59]
	v_add_f64 v[36:37], v[70:71], v[36:37]
	v_fmac_f64_e32 v[72:73], s[0:1], v[40:41]
	v_accvgpr_write_b32 a181, v229
	v_accvgpr_write_b32 a182, v230
	;; [unrolled: 1-line block ×3, first 2 shown]
	v_fma_f64 v[228:229], v[252:253], s[30:31], -v[78:79]
	v_mul_f64 v[232:233], v[2:3], s[56:57]
	v_add_f64 v[36:37], v[72:73], v[36:37]
	v_fmac_f64_e32 v[74:75], s[20:21], v[46:47]
	v_add_f64 v[66:67], v[228:229], v[66:67]
	v_fma_f64 v[228:229], s[16:17], v[22:23], v[232:233]
	v_add_f64 v[36:37], v[74:75], v[36:37]
	v_fmac_f64_e32 v[76:77], s[40:41], v[248:249]
	v_add_f64 v[230:231], v[228:229], v[50:51]
	v_mul_f64 v[50:51], v[28:29], s[56:57]
	v_add_f64 v[36:37], v[76:77], v[36:37]
	v_fma_f64 v[38:39], v[22:23], s[16:17], -v[232:233]
	v_fmac_f64_e32 v[78:79], s[30:31], v[252:253]
	v_fma_f64 v[228:229], v[0:1], s[16:17], -v[50:51]
	v_add_f64 v[234:235], v[38:39], v[30:31]
	v_fmac_f64_e32 v[50:51], s[16:17], v[0:1]
	v_add_f64 v[30:31], v[78:79], v[36:37]
	v_mul_f64 v[36:37], v[244:245], s[36:37]
	v_add_f64 v[232:233], v[50:51], v[30:31]
	v_mul_f64 v[30:31], v[24:25], s[26:27]
	v_fma_f64 v[38:39], s[20:21], v[26:27], v[36:37]
	v_add_f64 v[38:39], v[174:175], v[38:39]
	v_fma_f64 v[48:49], s[30:31], v[42:43], v[30:31]
	v_add_f64 v[38:39], v[48:49], v[38:39]
	v_mul_f64 v[48:49], v[44:45], s[54:55]
	v_mul_f64 v[50:51], v[2:3], s[54:55]
	s_mov_b32 s55, 0x3fc7851a
	v_mul_f64 v[52:53], v[34:35], s[54:55]
	v_fma_f64 v[54:55], s[24:25], v[58:59], v[52:53]
	v_add_f64 v[38:39], v[54:55], v[38:39]
	v_mul_f64 v[54:55], v[44:45], s[46:47]
	v_fma_f64 v[62:63], s[38:39], v[6:7], v[54:55]
	v_add_f64 v[38:39], v[62:63], v[38:39]
	;; [unrolled: 3-line block ×3, first 2 shown]
	v_mul_f64 v[64:65], v[250:251], s[28:29]
	v_add_f64 v[228:229], v[228:229], v[66:67]
	v_fma_f64 v[66:67], s[0:1], v[14:15], v[64:65]
	v_add_f64 v[38:39], v[66:67], v[38:39]
	v_mul_f64 v[66:67], v[254:255], s[22:23]
	v_fma_f64 v[68:69], s[18:19], v[18:19], v[66:67]
	v_mul_f64 v[70:71], v[236:237], s[36:37]
	v_add_f64 v[38:39], v[68:69], v[38:39]
	v_mul_f64 v[68:69], v[238:239], s[26:27]
	v_fma_f64 v[72:73], v[242:243], s[20:21], -v[70:71]
	v_add_f64 v[72:73], v[172:173], v[72:73]
	v_fma_f64 v[74:75], v[246:247], s[30:31], -v[68:69]
	v_mul_f64 v[4:5], v[4:5], s[54:55]
	v_add_f64 v[72:73], v[74:75], v[72:73]
	v_fma_f64 v[74:75], v[32:33], s[24:25], -v[4:5]
	v_mul_f64 v[8:9], v[8:9], s[46:47]
	v_add_f64 v[72:73], v[74:75], v[72:73]
	v_fma_f64 v[74:75], v[40:41], s[38:39], -v[8:9]
	v_mul_f64 v[12:13], v[12:13], s[56:57]
	v_add_f64 v[72:73], v[74:75], v[72:73]
	v_fma_f64 v[74:75], v[46:47], s[16:17], -v[12:13]
	v_mul_f64 v[16:17], v[16:17], s[28:29]
	v_add_f64 v[72:73], v[74:75], v[72:73]
	v_fma_f64 v[74:75], v[248:249], s[0:1], -v[16:17]
	v_mul_f64 v[20:21], v[20:21], s[22:23]
	v_add_f64 v[72:73], v[74:75], v[72:73]
	v_fma_f64 v[74:75], v[252:253], s[18:19], -v[20:21]
	v_add_f64 v[72:73], v[74:75], v[72:73]
	v_mul_f64 v[74:75], v[2:3], s[48:49]
	v_fma_f64 v[76:77], s[40:41], v[22:23], v[74:75]
	v_mul_f64 v[28:29], v[28:29], s[48:49]
	v_fma_f64 v[26:27], v[26:27], s[20:21], -v[36:37]
	v_add_f64 v[238:239], v[76:77], v[38:39]
	v_fma_f64 v[38:39], v[0:1], s[40:41], -v[28:29]
	v_fma_f64 v[30:31], v[42:43], s[30:31], -v[30:31]
	v_add_f64 v[26:27], v[174:175], v[26:27]
	v_add_f64 v[236:237], v[38:39], v[72:73]
	v_fma_f64 v[38:39], v[58:59], s[24:25], -v[52:53]
	v_add_f64 v[26:27], v[30:31], v[26:27]
	v_fma_f64 v[6:7], v[6:7], s[38:39], -v[54:55]
	;; [unrolled: 2-line block ×3, first 2 shown]
	v_add_f64 v[6:7], v[6:7], v[26:27]
	v_mul_f64 v[30:31], v[242:243], s[0:1]
	v_add_f64 v[6:7], v[10:11], v[6:7]
	v_mul_f64 v[10:11], v[242:243], s[16:17]
	v_fmac_f64_e32 v[70:71], s[20:21], v[242:243]
	v_accvgpr_read_b32 v243, a141
	v_fma_f64 v[18:19], v[18:19], s[18:19], -v[66:67]
	v_fmac_f64_e32 v[68:69], s[30:31], v[246:247]
	v_add_f64 v[52:53], v[172:173], v[70:71]
	v_mul_f64 v[66:67], v[254:255], s[50:51]
	v_accvgpr_read_b32 v242, a140
	v_add_f64 v[52:53], v[68:69], v[52:53]
	v_fmac_f64_e32 v[4:5], s[24:25], v[32:33]
	v_add_f64 v[66:67], v[242:243], -v[66:67]
	v_accvgpr_read_b32 v243, a139
	v_add_f64 v[4:5], v[4:5], v[52:53]
	v_fmac_f64_e32 v[8:9], s[38:39], v[40:41]
	v_mul_f64 v[62:63], v[250:251], s[46:47]
	v_accvgpr_read_b32 v242, a138
	v_add_f64 v[4:5], v[8:9], v[4:5]
	v_fmac_f64_e32 v[12:13], s[16:17], v[46:47]
	v_add_f64 v[62:63], v[242:243], -v[62:63]
	v_accvgpr_read_b32 v243, a133
	v_add_f64 v[4:5], v[12:13], v[4:5]
	v_mul_f64 v[12:13], v[56:57], s[42:43]
	v_mul_f64 v[56:57], v[56:57], s[44:45]
	v_accvgpr_read_b32 v242, a132
	v_add_f64 v[56:57], v[242:243], -v[56:57]
	v_accvgpr_read_b32 v243, a111
	v_accvgpr_read_b32 v242, a110
	v_add_f64 v[48:49], v[242:243], -v[48:49]
	v_accvgpr_read_b32 v243, a103
	v_fma_f64 v[22:23], v[22:23], s[40:41], -v[74:75]
	v_fma_f64 v[14:15], v[14:15], s[0:1], -v[64:65]
	v_mul_f64 v[54:55], v[34:35], s[36:37]
	v_mul_f64 v[34:35], v[34:35], s[26:27]
	v_accvgpr_read_b32 v242, a102
	v_accvgpr_read_b32 v74, a166
	v_mul_f64 v[36:37], v[244:245], s[34:35]
	v_add_f64 v[6:7], v[14:15], v[6:7]
	v_add_f64 v[34:35], v[242:243], -v[34:35]
	v_accvgpr_read_b32 v243, a95
	v_accvgpr_read_b32 v75, a167
	v_add_f64 v[6:7], v[18:19], v[6:7]
	v_mul_f64 v[18:19], v[24:25], s[34:35]
	v_mul_f64 v[24:25], v[24:25], s[22:23]
	v_accvgpr_read_b32 v242, a94
	v_add_f64 v[36:37], v[74:75], -v[36:37]
	v_add_f64 v[24:25], v[242:243], -v[24:25]
	v_add_f64 v[36:37], v[174:175], v[36:37]
	v_add_f64 v[24:25], v[24:25], v[36:37]
	v_accvgpr_read_b32 v36, a124
	v_mul_f64 v[8:9], v[46:47], s[38:39]
	v_mul_f64 v[46:47], v[46:47], s[40:41]
	v_accvgpr_read_b32 v37, a125
	v_add_f64 v[36:37], v[46:47], v[36:37]
	v_accvgpr_read_b32 v46, a104
	v_mul_f64 v[52:53], v[40:41], s[18:19]
	v_mul_f64 v[40:41], v[40:41], s[24:25]
	v_accvgpr_read_b32 v47, a105
	;; [unrolled: 5-line block ×3, first 2 shown]
	v_add_f64 v[32:33], v[32:33], v[46:47]
	v_accvgpr_read_b32 v46, a164
	v_mul_f64 v[38:39], v[246:247], s[18:19]
	v_add_f64 v[24:25], v[34:35], v[24:25]
	v_accvgpr_read_b32 v47, a165
	v_add_f64 v[24:25], v[48:49], v[24:25]
	v_add_f64 v[38:39], v[38:39], v[46:47]
	v_accvgpr_read_b32 v46, a162
	v_accvgpr_read_b32 v68, a148
	v_add_f64 v[24:25], v[56:57], v[24:25]
	v_accvgpr_read_b32 v47, a163
	v_mul_f64 v[2:3], v[2:3], s[52:53]
	v_accvgpr_read_b32 v69, a149
	v_add_f64 v[24:25], v[62:63], v[24:25]
	v_add_f64 v[10:11], v[10:11], v[46:47]
	v_add_f64 v[2:3], v[68:69], -v[2:3]
	v_add_f64 v[24:25], v[66:67], v[24:25]
	v_add_f64 v[10:11], v[172:173], v[10:11]
	;; [unrolled: 1-line block ×3, first 2 shown]
	v_accvgpr_read_b32 v24, a160
	v_add_f64 v[10:11], v[38:39], v[10:11]
	v_fmac_f64_e32 v[28:29], s[40:41], v[0:1]
	v_mul_f64 v[68:69], v[0:1], s[24:25]
	v_mul_f64 v[0:1], v[0:1], s[0:1]
	v_accvgpr_read_b32 v25, a161
	v_accvgpr_read_b32 v34, a130
	v_add_f64 v[10:11], v[32:33], v[10:11]
	v_mul_f64 v[58:59], v[248:249], s[38:39]
	v_add_f64 v[0:1], v[0:1], v[24:25]
	v_accvgpr_read_b32 v24, a136
	v_accvgpr_read_b32 v35, a131
	v_add_f64 v[10:11], v[40:41], v[10:11]
	v_fmac_f64_e32 v[16:17], s[0:1], v[248:249]
	v_mul_f64 v[64:65], v[252:253], s[20:21]
	v_accvgpr_read_b32 v25, a137
	v_add_f64 v[34:35], v[58:59], v[34:35]
	v_add_f64 v[10:11], v[36:37], v[10:11]
	;; [unrolled: 1-line block ×3, first 2 shown]
	v_fmac_f64_e32 v[20:21], s[18:19], v[252:253]
	v_add_f64 v[24:25], v[64:65], v[24:25]
	v_add_f64 v[10:11], v[34:35], v[10:11]
	v_add_f64 v[4:5], v[20:21], v[4:5]
	v_add_f64 v[10:11], v[24:25], v[10:11]
	v_accvgpr_read_b32 v24, a126
	v_add_f64 v[4:5], v[28:29], v[4:5]
	v_mul_f64 v[28:29], v[254:255], s[48:49]
	v_accvgpr_read_b32 v25, a127
	v_accvgpr_read_b32 v34, a152
	v_add_f64 v[24:25], v[24:25], -v[28:29]
	v_accvgpr_read_b32 v28, a112
	v_accvgpr_read_b32 v35, a153
	v_mul_f64 v[20:21], v[250:251], s[26:27]
	v_accvgpr_read_b32 v29, a113
	v_add_f64 v[18:19], v[34:35], -v[18:19]
	v_accvgpr_read_b32 v34, a150
	v_mul_f64 v[26:27], v[244:245], s[28:29]
	v_add_f64 v[20:21], v[28:29], -v[20:21]
	v_accvgpr_read_b32 v28, a106
	v_accvgpr_read_b32 v35, a151
	;; [unrolled: 1-line block ×4, first 2 shown]
	v_add_f64 v[26:27], v[34:35], -v[26:27]
	v_add_f64 v[12:13], v[28:29], -v[12:13]
	v_accvgpr_read_b32 v28, a96
	v_accvgpr_read_b32 v33, a159
	v_add_f64 v[26:27], v[174:175], v[26:27]
	v_mul_f64 v[44:45], v[44:45], s[22:23]
	v_accvgpr_read_b32 v29, a97
	v_add_f64 v[32:33], v[32:33], -v[54:55]
	v_add_f64 v[18:19], v[18:19], v[26:27]
	v_add_f64 v[28:29], v[28:29], -v[44:45]
	v_add_f64 v[18:19], v[32:33], v[18:19]
	v_add_f64 v[18:19], v[28:29], v[18:19]
	;; [unrolled: 1-line block ×5, first 2 shown]
	v_accvgpr_read_b32 v24, a144
	v_mul_f64 v[14:15], v[246:247], s[16:17]
	v_accvgpr_read_b32 v20, a108
	v_accvgpr_read_b32 v25, a145
	v_mul_f64 v[16:17], v[248:249], s[30:31]
	v_accvgpr_read_b32 v18, a114
	v_accvgpr_read_b32 v21, a109
	v_add_f64 v[14:15], v[14:15], v[24:25]
	v_accvgpr_read_b32 v24, a142
	v_add_f64 v[6:7], v[22:23], v[6:7]
	v_mul_f64 v[22:23], v[252:253], s[40:41]
	v_accvgpr_read_b32 v19, a115
	v_add_f64 v[16:17], v[16:17], v[20:21]
	v_accvgpr_read_b32 v20, a100
	v_accvgpr_read_b32 v25, a143
	v_add_f64 v[18:19], v[22:23], v[18:19]
	v_accvgpr_read_b32 v21, a101
	v_accvgpr_read_b32 v22, a146
	v_add_f64 v[24:25], v[30:31], v[24:25]
	v_add_f64 v[8:9], v[8:9], v[20:21]
	v_accvgpr_read_b32 v20, a92
	v_accvgpr_read_b32 v23, a147
	v_add_f64 v[24:25], v[172:173], v[24:25]
	v_add_f64 v[0:1], v[0:1], v[10:11]
	v_accvgpr_read_b32 v10, a134
	v_accvgpr_read_b32 v21, a93
	v_add_f64 v[22:23], v[42:43], v[22:23]
	v_add_f64 v[14:15], v[14:15], v[24:25]
	v_accvgpr_read_b32 v11, a135
	v_add_f64 v[20:21], v[52:53], v[20:21]
	v_add_f64 v[14:15], v[22:23], v[14:15]
	v_add_f64 v[10:11], v[10:11], -v[50:51]
	v_add_f64 v[14:15], v[20:21], v[14:15]
	v_add_f64 v[10:11], v[10:11], v[12:13]
	v_accvgpr_read_b32 v12, a128
	v_add_f64 v[8:9], v[8:9], v[14:15]
	v_accvgpr_read_b32 v13, a129
	v_add_f64 v[8:9], v[16:17], v[8:9]
	v_add_f64 v[12:13], v[68:69], v[12:13]
	;; [unrolled: 1-line block ×34, first 2 shown]
	v_accvgpr_read_b32 v16, a0
	v_add_f64 v[12:13], v[12:13], v[152:153]
	v_mul_lo_u16_e32 v16, 17, v16
	v_add_f64 v[12:13], v[12:13], v[156:157]
	v_lshlrev_b32_e32 v16, 4, v16
	ds_write_b128 v16, v[12:15]
	ds_write_b128 v16, v[8:11] offset:16
	ds_write_b128 v16, v[0:3] offset:32
	;; [unrolled: 1-line block ×4, first 2 shown]
	v_accvgpr_read_b32 v235, a11
	ds_write_b128 v16, v[100:103] offset:80
	ds_write_b128 v16, a[176:179] offset:96
	;; [unrolled: 1-line block ×9, first 2 shown]
	v_accvgpr_read_b32 v231, a7
	v_accvgpr_read_b32 v79, a87
	;; [unrolled: 1-line block ×7, first 2 shown]
	v_mov_b32_e32 v68, v241
	v_accvgpr_read_b32 v234, a10
	v_accvgpr_read_b32 v233, a9
	;; [unrolled: 1-line block ×6, first 2 shown]
	ds_write_b128 v16, v[236:239] offset:224
	ds_write_b128 v16, v[220:223] offset:240
	;; [unrolled: 1-line block ×3, first 2 shown]
.LBB0_17:
	s_or_b64 exec, exec, s[6:7]
	s_waitcnt lgkmcnt(0)
	s_barrier
	ds_read_b128 v[100:103], v60
	ds_read_b128 v[156:159], v60 offset:1632
	ds_read_b128 v[0:3], v60 offset:16320
	;; [unrolled: 1-line block ×14, first 2 shown]
	s_waitcnt lgkmcnt(4)
	v_mul_f64 v[36:37], v[234:235], v[26:27]
	v_fmac_f64_e32 v[36:37], v[232:233], v[24:25]
	v_mul_f64 v[24:25], v[234:235], v[24:25]
	v_fma_f64 v[24:25], v[232:233], v[26:27], -v[24:25]
	v_mul_f64 v[26:27], v[230:231], v[2:3]
	v_accvgpr_read_b32 v47, a19
	v_fmac_f64_e32 v[26:27], v[228:229], v[0:1]
	v_mul_f64 v[0:1], v[230:231], v[0:1]
	v_accvgpr_read_b32 v46, a18
	v_fma_f64 v[0:1], v[228:229], v[2:3], -v[0:1]
	v_accvgpr_read_b32 v45, a17
	v_accvgpr_read_b32 v44, a16
	v_mul_f64 v[2:3], v[46:47], v[10:11]
	v_fmac_f64_e32 v[2:3], v[44:45], v[8:9]
	v_mul_f64 v[8:9], v[46:47], v[8:9]
	v_fma_f64 v[38:39], v[44:45], v[10:11], -v[8:9]
	v_accvgpr_read_b32 v8, a12
	v_accvgpr_read_b32 v10, a14
	;; [unrolled: 1-line block ×4, first 2 shown]
	v_mul_f64 v[44:45], v[10:11], v[6:7]
	v_accvgpr_read_b32 v49, a27
	v_fmac_f64_e32 v[44:45], v[8:9], v[4:5]
	v_mul_f64 v[4:5], v[10:11], v[4:5]
	v_accvgpr_read_b32 v48, a26
	v_fma_f64 v[4:5], v[8:9], v[6:7], -v[4:5]
	v_accvgpr_read_b32 v47, a25
	v_accvgpr_read_b32 v46, a24
	v_mul_f64 v[6:7], v[48:49], v[14:15]
	v_fmac_f64_e32 v[6:7], v[46:47], v[12:13]
	v_mul_f64 v[8:9], v[48:49], v[12:13]
	v_accvgpr_read_b32 v10, a20
	v_accvgpr_read_b32 v12, a22
	;; [unrolled: 1-line block ×3, first 2 shown]
	v_fma_f64 v[46:47], v[46:47], v[14:15], -v[8:9]
	v_accvgpr_read_b32 v11, a21
	v_mul_f64 v[48:49], v[12:13], v[18:19]
	v_mul_f64 v[8:9], v[12:13], v[16:17]
	v_fmac_f64_e32 v[48:49], v[10:11], v[16:17]
	v_fma_f64 v[50:51], v[10:11], v[18:19], -v[8:9]
	v_accvgpr_read_b32 v10, a40
	v_accvgpr_read_b32 v12, a42
	;; [unrolled: 1-line block ×4, first 2 shown]
	s_waitcnt lgkmcnt(2)
	v_mul_f64 v[52:53], v[12:13], v[30:31]
	v_mul_f64 v[8:9], v[12:13], v[28:29]
	v_fmac_f64_e32 v[52:53], v[10:11], v[28:29]
	v_fma_f64 v[54:55], v[10:11], v[30:31], -v[8:9]
	v_accvgpr_read_b32 v10, a32
	v_accvgpr_read_b32 v12, a34
	;; [unrolled: 1-line block ×4, first 2 shown]
	v_mul_f64 v[56:57], v[12:13], v[22:23]
	v_mul_f64 v[8:9], v[12:13], v[20:21]
	v_fmac_f64_e32 v[56:57], v[10:11], v[20:21]
	v_fma_f64 v[58:59], v[10:11], v[22:23], -v[8:9]
	v_accvgpr_read_b32 v10, a56
	v_accvgpr_read_b32 v12, a58
	;; [unrolled: 1-line block ×4, first 2 shown]
	s_waitcnt lgkmcnt(1)
	v_mul_f64 v[62:63], v[12:13], v[34:35]
	v_mul_f64 v[8:9], v[12:13], v[32:33]
	v_fmac_f64_e32 v[62:63], v[10:11], v[32:33]
	v_fma_f64 v[64:65], v[10:11], v[34:35], -v[8:9]
	v_accvgpr_read_b32 v10, a52
	v_accvgpr_read_b32 v12, a54
	;; [unrolled: 1-line block ×4, first 2 shown]
	s_waitcnt lgkmcnt(0)
	v_mul_f64 v[66:67], v[12:13], v[42:43]
	v_mul_f64 v[8:9], v[12:13], v[40:41]
	v_fmac_f64_e32 v[66:67], v[10:11], v[40:41]
	v_fma_f64 v[40:41], v[10:11], v[42:43], -v[8:9]
	v_add_f64 v[10:11], v[36:37], v[26:27]
	s_mov_b32 s6, 0xe8584caa
	v_add_f64 v[8:9], v[100:101], v[36:37]
	v_fmac_f64_e32 v[100:101], -0.5, v[10:11]
	v_add_f64 v[10:11], v[24:25], -v[0:1]
	s_mov_b32 s7, 0xbfebb67a
	s_mov_b32 s1, 0x3febb67a
	;; [unrolled: 1-line block ×3, first 2 shown]
	v_fma_f64 v[12:13], s[6:7], v[10:11], v[100:101]
	v_fmac_f64_e32 v[100:101], s[0:1], v[10:11]
	v_add_f64 v[10:11], v[102:103], v[24:25]
	v_add_f64 v[10:11], v[10:11], v[0:1]
	v_add_f64 v[0:1], v[24:25], v[0:1]
	v_fmac_f64_e32 v[102:103], -0.5, v[0:1]
	v_add_f64 v[0:1], v[36:37], -v[26:27]
	v_fma_f64 v[14:15], s[0:1], v[0:1], v[102:103]
	v_fmac_f64_e32 v[102:103], s[6:7], v[0:1]
	v_add_f64 v[0:1], v[156:157], v[2:3]
	v_add_f64 v[16:17], v[0:1], v[44:45]
	v_add_f64 v[0:1], v[2:3], v[44:45]
	v_fmac_f64_e32 v[156:157], -0.5, v[0:1]
	v_add_f64 v[0:1], v[38:39], -v[4:5]
	;; [unrolled: 7-line block ×4, first 2 shown]
	v_fma_f64 v[28:29], s[6:7], v[0:1], v[160:161]
	v_fmac_f64_e32 v[160:161], s[0:1], v[0:1]
	v_add_f64 v[0:1], v[162:163], v[46:47]
	v_add_f64 v[8:9], v[8:9], v[26:27]
	;; [unrolled: 1-line block ×4, first 2 shown]
	v_fmac_f64_e32 v[162:163], -0.5, v[0:1]
	v_add_f64 v[0:1], v[6:7], -v[48:49]
	v_fma_f64 v[30:31], s[0:1], v[0:1], v[162:163]
	v_fmac_f64_e32 v[162:163], s[6:7], v[0:1]
	v_add_f64 v[0:1], v[164:165], v[52:53]
	v_add_f64 v[32:33], v[0:1], v[56:57]
	;; [unrolled: 1-line block ×3, first 2 shown]
	v_fmac_f64_e32 v[164:165], -0.5, v[0:1]
	v_add_f64 v[0:1], v[54:55], -v[58:59]
	v_fma_f64 v[36:37], s[6:7], v[0:1], v[164:165]
	v_fmac_f64_e32 v[164:165], s[0:1], v[0:1]
	v_add_f64 v[0:1], v[166:167], v[54:55]
	v_add_f64 v[34:35], v[0:1], v[58:59]
	;; [unrolled: 1-line block ×3, first 2 shown]
	v_fmac_f64_e32 v[166:167], -0.5, v[0:1]
	v_add_f64 v[0:1], v[52:53], -v[56:57]
	v_add_f64 v[2:3], v[62:63], v[66:67]
	v_fma_f64 v[38:39], s[0:1], v[0:1], v[166:167]
	v_fmac_f64_e32 v[166:167], s[6:7], v[0:1]
	v_add_f64 v[0:1], v[152:153], v[62:63]
	v_fmac_f64_e32 v[152:153], -0.5, v[2:3]
	v_add_f64 v[2:3], v[64:65], -v[40:41]
	v_fma_f64 v[4:5], s[6:7], v[2:3], v[152:153]
	v_fmac_f64_e32 v[152:153], s[0:1], v[2:3]
	v_add_f64 v[2:3], v[154:155], v[64:65]
	v_add_f64 v[6:7], v[64:65], v[40:41]
	;; [unrolled: 1-line block ×3, first 2 shown]
	v_fmac_f64_e32 v[154:155], -0.5, v[6:7]
	v_add_f64 v[40:41], v[62:63], -v[66:67]
	v_add_f64 v[0:1], v[0:1], v[66:67]
	v_fma_f64 v[6:7], s[0:1], v[40:41], v[154:155]
	v_fmac_f64_e32 v[154:155], s[6:7], v[40:41]
	s_barrier
	ds_write_b128 v68, v[8:11]
	ds_write_b128 v68, v[12:15] offset:272
	ds_write_b128 v68, v[100:103] offset:544
	ds_write_b128 v69, v[16:19]
	ds_write_b128 v69, v[20:23] offset:272
	ds_write_b128 v69, v[156:159] offset:544
	;; [unrolled: 3-line block ×5, first 2 shown]
	s_waitcnt lgkmcnt(0)
	s_barrier
	ds_read_b128 v[12:15], v60
	ds_read_b128 v[8:11], v60 offset:1632
	ds_read_b128 v[164:167], v60 offset:4080
	;; [unrolled: 1-line block ×11, first 2 shown]
	s_and_saveexec_b64 s[16:17], s[2:3]
	s_cbranch_execz .LBB0_19
; %bb.18:
	ds_read_b128 v[0:3], v60 offset:3264
	ds_read_b128 v[4:7], v60 offset:7344
	;; [unrolled: 1-line block ×6, first 2 shown]
.LBB0_19:
	s_or_b64 exec, exec, s[16:17]
	v_accvgpr_read_b32 v32, a78
	v_accvgpr_read_b32 v34, a80
	;; [unrolled: 1-line block ×5, first 2 shown]
	s_waitcnt lgkmcnt(9)
	v_mul_f64 v[26:27], v[34:35], v[166:167]
	v_mul_f64 v[24:25], v[34:35], v[164:165]
	v_accvgpr_read_b32 v42, a76
	v_accvgpr_read_b32 v43, a77
	v_accvgpr_read_b32 v44, a70
	v_fmac_f64_e32 v[26:27], v[32:33], v[164:165]
	v_fma_f64 v[32:33], v[32:33], v[166:167], -v[24:25]
	v_accvgpr_read_b32 v41, a75
	s_waitcnt lgkmcnt(7)
	v_mul_f64 v[24:25], v[42:43], v[162:163]
	v_mul_f64 v[34:35], v[42:43], v[160:161]
	v_accvgpr_read_b32 v46, a72
	v_accvgpr_read_b32 v47, a73
	v_accvgpr_read_b32 v56, a66
	v_fmac_f64_e32 v[24:25], v[40:41], v[160:161]
	v_fma_f64 v[34:35], v[40:41], v[162:163], -v[34:35]
	v_accvgpr_read_b32 v45, a71
	;; [unrolled: 9-line block ×3, first 2 shown]
	s_waitcnt lgkmcnt(3)
	v_mul_f64 v[44:45], v[58:59], v[102:103]
	v_mul_f64 v[46:47], v[58:59], v[100:101]
	v_accvgpr_read_b32 v64, a84
	v_accvgpr_read_b32 v65, a85
	v_fmac_f64_e32 v[44:45], v[56:57], v[100:101]
	v_fma_f64 v[46:47], v[56:57], v[102:103], -v[46:47]
	v_accvgpr_read_b32 v63, a83
	s_waitcnt lgkmcnt(1)
	v_mul_f64 v[56:57], v[64:65], v[54:55]
	v_fmac_f64_e32 v[56:57], v[62:63], v[52:53]
	v_mul_f64 v[52:53], v[64:65], v[52:53]
	v_fma_f64 v[52:53], v[62:63], v[54:55], -v[52:53]
	v_mul_f64 v[54:55], v[98:99], v[50:51]
	v_fmac_f64_e32 v[54:55], v[96:97], v[48:49]
	v_mul_f64 v[48:49], v[98:99], v[48:49]
	v_fma_f64 v[48:49], v[96:97], v[50:51], -v[48:49]
	v_mul_f64 v[50:51], v[94:95], v[38:39]
	v_fmac_f64_e32 v[50:51], v[92:93], v[36:37]
	v_mul_f64 v[36:37], v[94:95], v[36:37]
	s_waitcnt lgkmcnt(0)
	v_mul_f64 v[66:67], v[82:83], v[18:19]
	v_fma_f64 v[36:37], v[92:93], v[38:39], -v[36:37]
	v_mul_f64 v[38:39], v[90:91], v[30:31]
	v_fmac_f64_e32 v[66:67], v[80:81], v[16:17]
	v_mul_f64 v[16:17], v[82:83], v[16:17]
	v_fmac_f64_e32 v[38:39], v[88:89], v[28:29]
	v_mul_f64 v[28:29], v[90:91], v[28:29]
	v_fma_f64 v[68:69], v[80:81], v[18:19], -v[16:17]
	v_add_f64 v[16:17], v[12:13], v[24:25]
	v_fma_f64 v[58:59], v[88:89], v[30:31], -v[28:29]
	v_add_f64 v[28:29], v[16:17], v[44:45]
	v_add_f64 v[16:17], v[24:25], v[44:45]
	v_fmac_f64_e32 v[12:13], -0.5, v[16:17]
	v_add_f64 v[16:17], v[34:35], -v[46:47]
	v_fma_f64 v[30:31], s[6:7], v[16:17], v[12:13]
	v_fmac_f64_e32 v[12:13], s[0:1], v[16:17]
	v_add_f64 v[16:17], v[14:15], v[34:35]
	v_add_f64 v[70:71], v[16:17], v[46:47]
	v_add_f64 v[16:17], v[34:35], v[46:47]
	v_fmac_f64_e32 v[14:15], -0.5, v[16:17]
	v_add_f64 v[16:17], v[24:25], -v[44:45]
	v_fma_f64 v[34:35], s[0:1], v[16:17], v[14:15]
	v_fmac_f64_e32 v[14:15], s[6:7], v[16:17]
	v_add_f64 v[16:17], v[26:27], v[40:41]
	v_mul_f64 v[62:63], v[86:87], v[22:23]
	v_add_f64 v[44:45], v[16:17], v[56:57]
	v_add_f64 v[16:17], v[40:41], v[56:57]
	v_fmac_f64_e32 v[62:63], v[84:85], v[20:21]
	v_mul_f64 v[20:21], v[86:87], v[20:21]
	v_fmac_f64_e32 v[26:27], -0.5, v[16:17]
	v_add_f64 v[16:17], v[42:43], -v[52:53]
	v_fma_f64 v[64:65], v[84:85], v[22:23], -v[20:21]
	v_fma_f64 v[22:23], s[6:7], v[16:17], v[26:27]
	v_fmac_f64_e32 v[26:27], s[0:1], v[16:17]
	v_add_f64 v[16:17], v[32:33], v[42:43]
	v_add_f64 v[46:47], v[16:17], v[52:53]
	;; [unrolled: 1-line block ×3, first 2 shown]
	v_fmac_f64_e32 v[32:33], -0.5, v[16:17]
	v_add_f64 v[16:17], v[40:41], -v[56:57]
	v_fma_f64 v[40:41], s[0:1], v[16:17], v[32:33]
	v_fmac_f64_e32 v[32:33], s[6:7], v[16:17]
	v_mul_f64 v[42:43], v[40:41], s[6:7]
	v_mul_f64 v[40:41], v[40:41], 0.5
	v_mul_f64 v[52:53], v[32:33], s[6:7]
	v_fmac_f64_e32 v[40:41], s[0:1], v[22:23]
	v_fmac_f64_e32 v[42:43], 0.5, v[22:23]
	v_fmac_f64_e32 v[52:53], -0.5, v[26:27]
	v_add_f64 v[22:23], v[34:35], v[40:41]
	v_add_f64 v[34:35], v[34:35], -v[40:41]
	v_add_f64 v[40:41], v[8:9], v[50:51]
	v_add_f64 v[24:25], v[12:13], v[52:53]
	v_mul_f64 v[56:57], v[32:33], -0.5
	v_add_f64 v[12:13], v[12:13], -v[52:53]
	v_add_f64 v[52:53], v[40:41], v[62:63]
	v_add_f64 v[40:41], v[50:51], v[62:63]
	v_fmac_f64_e32 v[56:57], s[0:1], v[26:27]
	v_fmac_f64_e32 v[8:9], -0.5, v[40:41]
	v_add_f64 v[40:41], v[36:37], -v[64:65]
	v_add_f64 v[26:27], v[14:15], v[56:57]
	v_add_f64 v[14:15], v[14:15], -v[56:57]
	v_fma_f64 v[56:57], s[6:7], v[40:41], v[8:9]
	v_fmac_f64_e32 v[8:9], s[0:1], v[40:41]
	v_add_f64 v[40:41], v[10:11], v[36:37]
	v_add_f64 v[36:37], v[36:37], v[64:65]
	v_fmac_f64_e32 v[10:11], -0.5, v[36:37]
	v_add_f64 v[36:37], v[50:51], -v[62:63]
	v_fma_f64 v[62:63], s[0:1], v[36:37], v[10:11]
	v_fmac_f64_e32 v[10:11], s[6:7], v[36:37]
	v_add_f64 v[36:37], v[54:55], v[38:39]
	v_add_f64 v[50:51], v[36:37], v[66:67]
	;; [unrolled: 1-line block ×3, first 2 shown]
	v_fmac_f64_e32 v[54:55], -0.5, v[36:37]
	v_add_f64 v[36:37], v[58:59], -v[68:69]
	v_add_f64 v[20:21], v[30:31], v[42:43]
	v_add_f64 v[32:33], v[30:31], -v[42:43]
	v_fma_f64 v[42:43], s[6:7], v[36:37], v[54:55]
	v_fmac_f64_e32 v[54:55], s[0:1], v[36:37]
	v_add_f64 v[36:37], v[48:49], v[58:59]
	v_add_f64 v[18:19], v[70:71], v[46:47]
	v_add_f64 v[30:31], v[70:71], -v[46:47]
	v_add_f64 v[70:71], v[40:41], v[64:65]
	v_add_f64 v[64:65], v[36:37], v[68:69]
	;; [unrolled: 1-line block ×3, first 2 shown]
	v_fmac_f64_e32 v[48:49], -0.5, v[36:37]
	v_add_f64 v[36:37], v[38:39], -v[66:67]
	v_fma_f64 v[46:47], s[0:1], v[36:37], v[48:49]
	v_fmac_f64_e32 v[48:49], s[6:7], v[36:37]
	v_mul_f64 v[58:59], v[46:47], s[6:7]
	v_mul_f64 v[66:67], v[48:49], s[6:7]
	v_mul_f64 v[68:69], v[46:47], 0.5
	v_mul_f64 v[72:73], v[48:49], -0.5
	v_add_f64 v[16:17], v[28:29], v[44:45]
	v_fmac_f64_e32 v[58:59], 0.5, v[42:43]
	v_fmac_f64_e32 v[66:67], -0.5, v[54:55]
	v_fmac_f64_e32 v[68:69], s[0:1], v[42:43]
	v_fmac_f64_e32 v[72:73], s[0:1], v[54:55]
	v_add_f64 v[28:29], v[28:29], -v[44:45]
	v_add_f64 v[36:37], v[52:53], v[50:51]
	v_add_f64 v[40:41], v[56:57], v[58:59]
	;; [unrolled: 1-line block ×6, first 2 shown]
	v_add_f64 v[48:49], v[52:53], -v[50:51]
	v_add_f64 v[52:53], v[56:57], -v[58:59]
	;; [unrolled: 1-line block ×6, first 2 shown]
	s_barrier
	ds_write_b128 v79, v[16:19]
	ds_write_b128 v79, v[20:23] offset:816
	ds_write_b128 v79, v[24:27] offset:1632
	;; [unrolled: 1-line block ×5, first 2 shown]
	ds_write_b128 v61, v[36:39]
	ds_write_b128 v61, v[40:43] offset:816
	ds_write_b128 v61, v[44:47] offset:1632
	;; [unrolled: 1-line block ×5, first 2 shown]
	s_and_saveexec_b64 s[0:1], s[2:3]
	s_cbranch_execz .LBB0_21
; %bb.20:
	v_accvgpr_read_b32 v26, a48
	v_accvgpr_read_b32 v28, a50
	;; [unrolled: 1-line block ×7, first 2 shown]
	v_mul_f64 v[8:9], v[28:29], v[152:153]
	v_accvgpr_read_b32 v22, a44
	v_mul_f64 v[16:17], v[28:29], v[154:155]
	v_accvgpr_read_b32 v47, a31
	v_accvgpr_read_b32 v34, a38
	;; [unrolled: 1-line block ×7, first 2 shown]
	v_fma_f64 v[10:11], v[26:27], v[154:155], -v[8:9]
	v_accvgpr_read_b32 v24, a46
	v_accvgpr_read_b32 v25, a47
	v_fmac_f64_e32 v[16:17], v[26:27], v[152:153]
	v_accvgpr_read_b32 v46, a30
	v_accvgpr_read_b32 v33, a37
	v_mul_f64 v[26:27], v[34:35], v[222:223]
	v_accvgpr_read_b32 v37, a61
	v_accvgpr_read_b32 v41, a89
	v_mul_f64 v[28:29], v[38:39], v[42:43]
	v_mul_f64 v[8:9], v[24:25], v[224:225]
	;; [unrolled: 1-line block ×3, first 2 shown]
	v_accvgpr_read_b32 v45, a29
	v_accvgpr_read_b32 v44, a28
	v_mul_f64 v[24:25], v[46:47], v[6:7]
	v_fmac_f64_e32 v[26:27], v[32:33], v[220:221]
	v_fmac_f64_e32 v[28:29], v[36:37], v[40:41]
	;; [unrolled: 1-line block ×3, first 2 shown]
	v_add_f64 v[12:13], v[26:27], v[28:29]
	v_fma_f64 v[30:31], -0.5, v[12:13], v[24:25]
	v_mul_f64 v[12:13], v[34:35], v[220:221]
	v_accvgpr_read_b32 v23, a45
	v_fma_f64 v[12:13], v[32:33], v[222:223], -v[12:13]
	v_mul_f64 v[32:33], v[38:39], v[40:41]
	v_fma_f64 v[14:15], v[22:23], v[226:227], -v[8:9]
	v_fma_f64 v[32:33], v[36:37], v[42:43], -v[32:33]
	v_mul_f64 v[4:5], v[46:47], v[4:5]
	v_add_f64 v[8:9], v[10:11], v[14:15]
	s_mov_b32 s2, 0xe8584caa
	v_fma_f64 v[6:7], v[44:45], v[6:7], -v[4:5]
	v_add_f64 v[4:5], v[12:13], v[32:33]
	v_fma_f64 v[18:19], -0.5, v[8:9], v[2:3]
	s_mov_b32 s3, 0xbfebb67a
	s_mov_b32 s7, 0x3febb67a
	;; [unrolled: 1-line block ×3, first 2 shown]
	v_fma_f64 v[38:39], -0.5, v[4:5], v[6:7]
	v_add_f64 v[40:41], v[26:27], -v[28:29]
	v_add_f64 v[2:3], v[2:3], v[10:11]
	v_fmac_f64_e32 v[20:21], v[22:23], v[224:225]
	v_fma_f64 v[42:43], s[2:3], v[40:41], v[38:39]
	v_fmac_f64_e32 v[38:39], s[6:7], v[40:41]
	v_add_f64 v[40:41], v[2:3], v[14:15]
	v_add_f64 v[2:3], v[6:7], v[12:13]
	v_add_f64 v[34:35], v[12:13], -v[32:33]
	v_add_f64 v[32:33], v[2:3], v[32:33]
	v_add_f64 v[2:3], v[16:17], v[20:21]
	v_add_f64 v[8:9], v[16:17], -v[20:21]
	v_fma_f64 v[36:37], s[6:7], v[34:35], v[30:31]
	v_mul_f64 v[44:45], v[42:43], -0.5
	v_fma_f64 v[46:47], -0.5, v[2:3], v[0:1]
	v_add_f64 v[6:7], v[10:11], -v[14:15]
	v_mul_f64 v[42:43], v[42:43], s[2:3]
	v_add_f64 v[0:1], v[0:1], v[16:17]
	v_add_f64 v[10:11], v[24:25], v[26:27]
	v_fma_f64 v[22:23], s[2:3], v[8:9], v[18:19]
	v_fmac_f64_e32 v[44:45], s[6:7], v[36:37]
	v_fmac_f64_e32 v[30:31], s[2:3], v[34:35]
	v_mul_f64 v[34:35], v[38:39], 0.5
	v_fmac_f64_e32 v[42:43], -0.5, v[36:37]
	v_mul_f64 v[36:37], v[38:39], s[2:3]
	v_add_f64 v[0:1], v[0:1], v[20:21]
	v_add_f64 v[26:27], v[10:11], v[28:29]
	v_add_f64 v[4:5], v[22:23], -v[44:45]
	v_fmac_f64_e32 v[18:19], s[6:7], v[8:9]
	v_fmac_f64_e32 v[34:35], s[6:7], v[30:31]
	v_fma_f64 v[14:15], s[6:7], v[6:7], v[46:47]
	v_fmac_f64_e32 v[46:47], s[2:3], v[6:7]
	v_fmac_f64_e32 v[36:37], 0.5, v[30:31]
	v_add_f64 v[16:17], v[22:23], v[44:45]
	v_add_f64 v[24:25], v[40:41], v[32:33]
	;; [unrolled: 1-line block ×3, first 2 shown]
	v_add_f64 v[8:9], v[18:19], -v[34:35]
	v_add_f64 v[12:13], v[40:41], -v[32:33]
	;; [unrolled: 1-line block ×5, first 2 shown]
	v_add_f64 v[20:21], v[18:19], v[34:35]
	v_add_f64 v[14:15], v[14:15], v[42:43]
	;; [unrolled: 1-line block ×3, first 2 shown]
	ds_write_b128 v78, v[22:25] offset:19584
	ds_write_b128 v78, v[18:21] offset:20400
	;; [unrolled: 1-line block ×6, first 2 shown]
.LBB0_21:
	s_or_b64 exec, exec, s[0:1]
	s_waitcnt lgkmcnt(0)
	s_barrier
	ds_read_b128 v[0:3], v60
	ds_read_b128 v[4:7], v60 offset:1632
	ds_read_b128 v[12:15], v60 offset:9792
	;; [unrolled: 1-line block ×14, first 2 shown]
	s_waitcnt lgkmcnt(12)
	v_mul_f64 v[68:69], v[118:119], v[14:15]
	v_fmac_f64_e32 v[68:69], v[116:117], v[12:13]
	v_mul_f64 v[12:13], v[118:119], v[12:13]
	v_fma_f64 v[70:71], v[116:117], v[14:15], -v[12:13]
	s_waitcnt lgkmcnt(4)
	v_mul_f64 v[12:13], v[114:115], v[42:43]
	v_mul_f64 v[72:73], v[114:115], v[44:45]
	v_fma_f64 v[44:45], v[112:113], v[44:45], -v[12:13]
	v_mul_f64 v[12:13], v[106:107], v[20:21]
	v_fma_f64 v[76:77], v[104:105], v[22:23], -v[12:13]
	;; [unrolled: 2-line block ×4, first 2 shown]
	s_waitcnt lgkmcnt(2)
	v_mul_f64 v[12:13], v[126:127], v[50:51]
	v_mul_f64 v[58:59], v[110:111], v[30:31]
	v_fma_f64 v[88:89], v[124:125], v[52:53], -v[12:13]
	v_mul_f64 v[12:13], v[122:123], v[24:25]
	v_fmac_f64_e32 v[58:59], v[108:109], v[28:29]
	v_mul_f64 v[28:29], v[110:111], v[28:29]
	v_fma_f64 v[92:93], v[120:121], v[26:27], -v[12:13]
	v_mul_f64 v[12:13], v[146:147], v[38:39]
	v_fma_f64 v[66:67], v[108:109], v[30:31], -v[28:29]
	v_fma_f64 v[28:29], v[144:145], v[40:41], -v[12:13]
	v_mul_f64 v[12:13], v[150:151], v[46:47]
	v_mul_f64 v[78:79], v[130:131], v[34:35]
	v_fma_f64 v[30:31], v[148:149], v[48:49], -v[12:13]
	s_waitcnt lgkmcnt(1)
	v_mul_f64 v[12:13], v[142:143], v[54:55]
	v_fmac_f64_e32 v[78:79], v[128:129], v[32:33]
	v_fma_f64 v[32:33], v[140:141], v[56:57], -v[12:13]
	s_waitcnt lgkmcnt(0)
	v_mul_f64 v[12:13], v[138:139], v[62:63]
	v_fma_f64 v[34:35], v[136:137], v[64:65], -v[12:13]
	v_add_f64 v[12:13], v[0:1], v[58:59]
	v_fmac_f64_e32 v[72:73], v[112:113], v[42:43]
	v_mul_f64 v[74:75], v[106:107], v[22:23]
	v_add_f64 v[12:13], v[12:13], v[68:69]
	v_fmac_f64_e32 v[74:75], v[104:105], v[20:21]
	v_mul_f64 v[82:83], v[134:135], v[18:19]
	v_add_f64 v[12:13], v[12:13], v[72:73]
	v_fmac_f64_e32 v[82:83], v[132:133], v[16:17]
	v_add_f64 v[16:17], v[12:13], v[74:75]
	v_add_f64 v[12:13], v[68:69], v[72:73]
	s_mov_b32 s2, 0x134454ff
	v_mul_f64 v[90:91], v[122:123], v[26:27]
	v_fma_f64 v[12:13], -0.5, v[12:13], v[0:1]
	v_add_f64 v[14:15], v[66:67], -v[76:77]
	s_mov_b32 s3, 0xbfee6f0e
	s_mov_b32 s0, 0x4755a5e
	;; [unrolled: 1-line block ×4, first 2 shown]
	v_fmac_f64_e32 v[90:91], v[120:121], v[24:25]
	v_fma_f64 v[20:21], s[2:3], v[14:15], v[12:13]
	v_add_f64 v[18:19], v[70:71], -v[44:45]
	s_mov_b32 s1, 0xbfe2cf23
	v_add_f64 v[22:23], v[58:59], -v[68:69]
	v_add_f64 v[24:25], v[74:75], -v[72:73]
	s_mov_b32 s6, 0x372fe950
	v_fmac_f64_e32 v[12:13], s[16:17], v[14:15]
	s_mov_b32 s19, 0x3fe2cf23
	s_mov_b32 s18, s0
	v_fmac_f64_e32 v[20:21], s[0:1], v[18:19]
	v_add_f64 v[22:23], v[22:23], v[24:25]
	s_mov_b32 s7, 0x3fd3c6ef
	v_fmac_f64_e32 v[12:13], s[18:19], v[18:19]
	v_fmac_f64_e32 v[20:21], s[6:7], v[22:23]
	;; [unrolled: 1-line block ×3, first 2 shown]
	v_add_f64 v[22:23], v[58:59], v[74:75]
	v_fmac_f64_e32 v[0:1], -0.5, v[22:23]
	v_fma_f64 v[24:25], s[16:17], v[18:19], v[0:1]
	v_fmac_f64_e32 v[0:1], s[2:3], v[18:19]
	v_fmac_f64_e32 v[24:25], s[0:1], v[14:15]
	;; [unrolled: 1-line block ×3, first 2 shown]
	v_add_f64 v[14:15], v[2:3], v[66:67]
	v_add_f64 v[14:15], v[14:15], v[70:71]
	v_mul_f64 v[36:37], v[146:147], v[40:41]
	v_add_f64 v[14:15], v[14:15], v[44:45]
	v_fmac_f64_e32 v[36:37], v[144:145], v[38:39]
	v_mul_f64 v[38:39], v[150:151], v[48:49]
	v_add_f64 v[22:23], v[68:69], -v[58:59]
	v_add_f64 v[26:27], v[72:73], -v[74:75]
	v_add_f64 v[18:19], v[14:15], v[76:77]
	v_add_f64 v[14:15], v[70:71], v[44:45]
	v_mul_f64 v[86:87], v[126:127], v[52:53]
	v_fmac_f64_e32 v[38:39], v[148:149], v[46:47]
	v_add_f64 v[22:23], v[22:23], v[26:27]
	v_fma_f64 v[14:15], -0.5, v[14:15], v[2:3]
	v_add_f64 v[46:47], v[58:59], -v[74:75]
	v_fmac_f64_e32 v[86:87], v[124:125], v[50:51]
	v_fmac_f64_e32 v[24:25], s[6:7], v[22:23]
	;; [unrolled: 1-line block ×3, first 2 shown]
	v_fma_f64 v[22:23], s[16:17], v[46:47], v[14:15]
	v_add_f64 v[48:49], v[68:69], -v[72:73]
	v_add_f64 v[26:27], v[66:67], -v[70:71]
	;; [unrolled: 1-line block ×3, first 2 shown]
	v_fmac_f64_e32 v[14:15], s[2:3], v[46:47]
	v_fmac_f64_e32 v[22:23], s[18:19], v[48:49]
	v_add_f64 v[26:27], v[26:27], v[50:51]
	v_fmac_f64_e32 v[14:15], s[0:1], v[48:49]
	v_fmac_f64_e32 v[22:23], s[6:7], v[26:27]
	;; [unrolled: 1-line block ×3, first 2 shown]
	v_add_f64 v[26:27], v[66:67], v[76:77]
	v_fmac_f64_e32 v[2:3], -0.5, v[26:27]
	v_fma_f64 v[26:27], s[2:3], v[48:49], v[2:3]
	v_fmac_f64_e32 v[2:3], s[16:17], v[48:49]
	v_fmac_f64_e32 v[26:27], s[18:19], v[46:47]
	;; [unrolled: 1-line block ×3, first 2 shown]
	v_add_f64 v[46:47], v[82:83], v[86:87]
	v_mul_f64 v[40:41], v[142:143], v[56:57]
	v_add_f64 v[50:51], v[70:71], -v[66:67]
	v_add_f64 v[44:45], v[44:45], -v[76:77]
	v_fma_f64 v[48:49], -0.5, v[46:47], v[4:5]
	v_add_f64 v[46:47], v[80:81], -v[92:93]
	v_fmac_f64_e32 v[40:41], v[140:141], v[54:55]
	v_add_f64 v[44:45], v[50:51], v[44:45]
	v_fma_f64 v[52:53], s[2:3], v[46:47], v[48:49]
	v_add_f64 v[50:51], v[84:85], -v[88:89]
	v_add_f64 v[54:55], v[78:79], -v[82:83]
	;; [unrolled: 1-line block ×3, first 2 shown]
	v_fmac_f64_e32 v[48:49], s[16:17], v[46:47]
	v_fmac_f64_e32 v[52:53], s[0:1], v[50:51]
	v_add_f64 v[54:55], v[54:55], v[56:57]
	v_fmac_f64_e32 v[48:49], s[18:19], v[50:51]
	v_fmac_f64_e32 v[52:53], s[6:7], v[54:55]
	;; [unrolled: 1-line block ×3, first 2 shown]
	v_add_f64 v[54:55], v[78:79], v[90:91]
	v_fmac_f64_e32 v[26:27], s[6:7], v[44:45]
	v_fmac_f64_e32 v[2:3], s[6:7], v[44:45]
	v_add_f64 v[44:45], v[4:5], v[78:79]
	v_fmac_f64_e32 v[4:5], -0.5, v[54:55]
	v_mul_f64 v[42:43], v[138:139], v[64:65]
	v_fma_f64 v[56:57], s[16:17], v[50:51], v[4:5]
	v_add_f64 v[54:55], v[82:83], -v[78:79]
	v_add_f64 v[58:59], v[86:87], -v[90:91]
	v_fmac_f64_e32 v[4:5], s[2:3], v[50:51]
	v_add_f64 v[50:51], v[84:85], v[88:89]
	v_fmac_f64_e32 v[42:43], v[136:137], v[62:63]
	v_fmac_f64_e32 v[56:57], s[0:1], v[46:47]
	v_add_f64 v[54:55], v[54:55], v[58:59]
	v_fmac_f64_e32 v[4:5], s[18:19], v[46:47]
	v_fma_f64 v[50:51], -0.5, v[50:51], v[6:7]
	v_add_f64 v[62:63], v[78:79], -v[90:91]
	v_fmac_f64_e32 v[56:57], s[6:7], v[54:55]
	v_fmac_f64_e32 v[4:5], s[6:7], v[54:55]
	v_fma_f64 v[54:55], s[16:17], v[62:63], v[50:51]
	v_add_f64 v[64:65], v[82:83], -v[86:87]
	v_add_f64 v[58:59], v[80:81], -v[84:85]
	v_add_f64 v[66:67], v[92:93], -v[88:89]
	v_fmac_f64_e32 v[50:51], s[2:3], v[62:63]
	v_fmac_f64_e32 v[54:55], s[18:19], v[64:65]
	v_add_f64 v[58:59], v[58:59], v[66:67]
	v_fmac_f64_e32 v[50:51], s[0:1], v[64:65]
	v_fmac_f64_e32 v[54:55], s[6:7], v[58:59]
	v_fmac_f64_e32 v[50:51], s[6:7], v[58:59]
	v_add_f64 v[58:59], v[80:81], v[92:93]
	v_add_f64 v[46:47], v[6:7], v[80:81]
	v_fmac_f64_e32 v[6:7], -0.5, v[58:59]
	v_fma_f64 v[58:59], s[2:3], v[64:65], v[6:7]
	v_add_f64 v[66:67], v[84:85], -v[80:81]
	v_add_f64 v[68:69], v[88:89], -v[92:93]
	v_fmac_f64_e32 v[6:7], s[16:17], v[64:65]
	v_fmac_f64_e32 v[58:59], s[18:19], v[62:63]
	v_add_f64 v[66:67], v[66:67], v[68:69]
	v_fmac_f64_e32 v[6:7], s[0:1], v[62:63]
	v_add_f64 v[64:65], v[38:39], v[40:41]
	v_fmac_f64_e32 v[58:59], s[6:7], v[66:67]
	v_fmac_f64_e32 v[6:7], s[6:7], v[66:67]
	v_fma_f64 v[66:67], -0.5, v[64:65], v[8:9]
	v_add_f64 v[64:65], v[28:29], -v[34:35]
	v_fma_f64 v[70:71], s[2:3], v[64:65], v[66:67]
	v_add_f64 v[68:69], v[30:31], -v[32:33]
	v_add_f64 v[72:73], v[36:37], -v[38:39]
	;; [unrolled: 1-line block ×3, first 2 shown]
	v_fmac_f64_e32 v[66:67], s[16:17], v[64:65]
	v_fmac_f64_e32 v[70:71], s[0:1], v[68:69]
	v_add_f64 v[72:73], v[72:73], v[74:75]
	v_fmac_f64_e32 v[66:67], s[18:19], v[68:69]
	v_fmac_f64_e32 v[70:71], s[6:7], v[72:73]
	;; [unrolled: 1-line block ×3, first 2 shown]
	v_add_f64 v[72:73], v[36:37], v[42:43]
	v_add_f64 v[62:63], v[8:9], v[36:37]
	v_fmac_f64_e32 v[8:9], -0.5, v[72:73]
	v_add_f64 v[62:63], v[62:63], v[38:39]
	v_fma_f64 v[74:75], s[16:17], v[68:69], v[8:9]
	v_add_f64 v[72:73], v[38:39], -v[36:37]
	v_add_f64 v[76:77], v[40:41], -v[42:43]
	v_fmac_f64_e32 v[8:9], s[2:3], v[68:69]
	v_add_f64 v[68:69], v[30:31], v[32:33]
	v_add_f64 v[62:63], v[62:63], v[40:41]
	v_fmac_f64_e32 v[74:75], s[0:1], v[64:65]
	v_add_f64 v[72:73], v[72:73], v[76:77]
	v_fmac_f64_e32 v[8:9], s[18:19], v[64:65]
	v_fma_f64 v[68:69], -0.5, v[68:69], v[10:11]
	v_add_f64 v[36:37], v[36:37], -v[42:43]
	v_add_f64 v[62:63], v[62:63], v[42:43]
	v_fmac_f64_e32 v[74:75], s[6:7], v[72:73]
	v_fmac_f64_e32 v[8:9], s[6:7], v[72:73]
	v_fma_f64 v[72:73], s[16:17], v[36:37], v[68:69]
	v_add_f64 v[38:39], v[38:39], -v[40:41]
	v_add_f64 v[40:41], v[28:29], -v[30:31]
	;; [unrolled: 1-line block ×3, first 2 shown]
	v_fmac_f64_e32 v[68:69], s[2:3], v[36:37]
	v_fmac_f64_e32 v[72:73], s[18:19], v[38:39]
	v_add_f64 v[40:41], v[40:41], v[42:43]
	v_fmac_f64_e32 v[68:69], s[0:1], v[38:39]
	v_fmac_f64_e32 v[72:73], s[6:7], v[40:41]
	;; [unrolled: 1-line block ×3, first 2 shown]
	v_add_f64 v[40:41], v[28:29], v[34:35]
	v_add_f64 v[64:65], v[10:11], v[28:29]
	v_fmac_f64_e32 v[10:11], -0.5, v[40:41]
	v_add_f64 v[44:45], v[44:45], v[82:83]
	v_add_f64 v[46:47], v[46:47], v[84:85]
	v_add_f64 v[64:65], v[64:65], v[30:31]
	v_fma_f64 v[76:77], s[2:3], v[38:39], v[10:11]
	v_add_f64 v[28:29], v[30:31], -v[28:29]
	v_add_f64 v[30:31], v[32:33], -v[34:35]
	v_fmac_f64_e32 v[10:11], s[16:17], v[38:39]
	v_add_f64 v[44:45], v[44:45], v[86:87]
	v_add_f64 v[46:47], v[46:47], v[88:89]
	;; [unrolled: 1-line block ×3, first 2 shown]
	v_fmac_f64_e32 v[76:77], s[18:19], v[36:37]
	v_add_f64 v[28:29], v[28:29], v[30:31]
	v_fmac_f64_e32 v[10:11], s[0:1], v[36:37]
	v_add_f64 v[44:45], v[44:45], v[90:91]
	v_add_f64 v[46:47], v[46:47], v[92:93]
	;; [unrolled: 1-line block ×3, first 2 shown]
	v_fmac_f64_e32 v[76:77], s[6:7], v[28:29]
	v_fmac_f64_e32 v[10:11], s[6:7], v[28:29]
	ds_write_b128 v60, v[16:19]
	ds_write_b128 v60, v[20:23] offset:4896
	ds_write_b128 v60, v[24:27] offset:9792
	;; [unrolled: 1-line block ×14, first 2 shown]
	s_and_b64 s[0:1], exec, s[4:5]
	v_accvgpr_read_b32 v26, a0
	s_waitcnt lgkmcnt(0)
	s_barrier
	s_mov_b64 exec, s[0:1]
	s_cbranch_execz .LBB0_23
; %bb.22:
	global_load_dwordx4 v[0:3], v240, s[12:13]
	v_accvgpr_read_b32 v28, a2
	v_mad_u64_u32 v[14:15], s[0:1], s10, v28, 0
	ds_read_b128 v[4:7], v60
	ds_read_b128 v[8:11], v240 offset:1440
	ds_read_b128 v[18:21], v240 offset:23040
	v_mov_b32_e32 v22, v15
	v_mad_u64_u32 v[16:17], s[2:3], s8, v26, 0
	v_mad_u64_u32 v[22:23], s[2:3], s11, v28, v[22:23]
	v_mov_b32_e32 v12, s14
	v_mov_b32_e32 v13, s15
	;; [unrolled: 1-line block ×4, first 2 shown]
	s_mov_b32 s0, 0x156ac015
	v_mad_u64_u32 v[24:25], s[2:3], s9, v26, v[24:25]
	v_lshl_add_u64 v[12:13], v[14:15], 4, v[12:13]
	s_mov_b32 s1, 0x3f456ac0
	v_mov_b32_e32 v17, v24
	v_lshl_add_u64 v[12:13], v[16:17], 4, v[12:13]
	v_mov_b32_e32 v24, 0x5a0
	s_mul_i32 s2, s9, 0x5a0
	v_mov_b32_e32 v241, 0
	s_movk_i32 s3, 0x1000
	s_waitcnt vmcnt(0) lgkmcnt(2)
	v_mul_f64 v[14:15], v[6:7], v[2:3]
	v_mul_f64 v[2:3], v[4:5], v[2:3]
	v_fmac_f64_e32 v[14:15], v[4:5], v[0:1]
	v_fma_f64 v[2:3], v[0:1], v[6:7], -v[2:3]
	v_mul_f64 v[0:1], v[14:15], s[0:1]
	v_mul_f64 v[2:3], v[2:3], s[0:1]
	global_store_dwordx4 v[12:13], v[0:3], off
	global_load_dwordx4 v[0:3], v240, s[12:13] offset:1440
	v_mad_u64_u32 v[12:13], s[4:5], s8, v24, v[12:13]
	v_add_u32_e32 v13, s2, v13
	v_lshl_add_u64 v[14:15], s[12:13], 0, v[240:241]
	v_add_co_u32_e32 v16, vcc, s3, v14
	s_movk_i32 s3, 0x2000
	s_nop 0
	v_addc_co_u32_e32 v17, vcc, 0, v15, vcc
	s_waitcnt vmcnt(0) lgkmcnt(1)
	v_mul_f64 v[4:5], v[10:11], v[2:3]
	v_mul_f64 v[2:3], v[8:9], v[2:3]
	v_fmac_f64_e32 v[4:5], v[8:9], v[0:1]
	v_fma_f64 v[2:3], v[0:1], v[10:11], -v[2:3]
	v_mul_f64 v[0:1], v[4:5], s[0:1]
	v_mul_f64 v[2:3], v[2:3], s[0:1]
	global_store_dwordx4 v[12:13], v[0:3], off
	global_load_dwordx4 v[0:3], v240, s[12:13] offset:2880
	ds_read_b128 v[4:7], v240 offset:2880
	ds_read_b128 v[8:11], v240 offset:4320
	v_mad_u64_u32 v[12:13], s[4:5], s8, v24, v[12:13]
	v_add_u32_e32 v13, s2, v13
	s_waitcnt vmcnt(0) lgkmcnt(1)
	v_mul_f64 v[22:23], v[6:7], v[2:3]
	v_mul_f64 v[2:3], v[4:5], v[2:3]
	v_fmac_f64_e32 v[22:23], v[4:5], v[0:1]
	v_fma_f64 v[2:3], v[0:1], v[6:7], -v[2:3]
	v_mul_f64 v[0:1], v[22:23], s[0:1]
	v_mul_f64 v[2:3], v[2:3], s[0:1]
	global_store_dwordx4 v[12:13], v[0:3], off
	global_load_dwordx4 v[0:3], v[16:17], off offset:224
	v_mad_u64_u32 v[12:13], s[4:5], s8, v24, v[12:13]
	v_add_u32_e32 v13, s2, v13
	s_waitcnt vmcnt(0) lgkmcnt(0)
	v_mul_f64 v[4:5], v[10:11], v[2:3]
	v_mul_f64 v[2:3], v[8:9], v[2:3]
	v_fmac_f64_e32 v[4:5], v[8:9], v[0:1]
	v_fma_f64 v[2:3], v[0:1], v[10:11], -v[2:3]
	v_mul_f64 v[0:1], v[4:5], s[0:1]
	v_mul_f64 v[2:3], v[2:3], s[0:1]
	global_store_dwordx4 v[12:13], v[0:3], off
	global_load_dwordx4 v[0:3], v[16:17], off offset:1664
	ds_read_b128 v[4:7], v240 offset:5760
	ds_read_b128 v[8:11], v240 offset:7200
	v_mad_u64_u32 v[12:13], s[4:5], s8, v24, v[12:13]
	v_add_u32_e32 v13, s2, v13
	s_waitcnt vmcnt(0) lgkmcnt(1)
	v_mul_f64 v[22:23], v[6:7], v[2:3]
	v_mul_f64 v[2:3], v[4:5], v[2:3]
	v_fmac_f64_e32 v[22:23], v[4:5], v[0:1]
	v_fma_f64 v[2:3], v[0:1], v[6:7], -v[2:3]
	v_mul_f64 v[0:1], v[22:23], s[0:1]
	v_mul_f64 v[2:3], v[2:3], s[0:1]
	global_store_dwordx4 v[12:13], v[0:3], off
	global_load_dwordx4 v[0:3], v[16:17], off offset:3104
	v_mad_u64_u32 v[12:13], s[4:5], s8, v24, v[12:13]
	v_add_co_u32_e32 v16, vcc, s3, v14
	v_add_u32_e32 v13, s2, v13
	s_nop 0
	v_addc_co_u32_e32 v17, vcc, 0, v15, vcc
	s_movk_i32 s3, 0x3000
	s_waitcnt vmcnt(0) lgkmcnt(0)
	v_mul_f64 v[4:5], v[10:11], v[2:3]
	v_mul_f64 v[2:3], v[8:9], v[2:3]
	v_fmac_f64_e32 v[4:5], v[8:9], v[0:1]
	v_fma_f64 v[2:3], v[0:1], v[10:11], -v[2:3]
	v_mul_f64 v[0:1], v[4:5], s[0:1]
	v_mul_f64 v[2:3], v[2:3], s[0:1]
	global_store_dwordx4 v[12:13], v[0:3], off
	global_load_dwordx4 v[0:3], v[16:17], off offset:448
	ds_read_b128 v[4:7], v240 offset:8640
	ds_read_b128 v[8:11], v240 offset:10080
	v_mad_u64_u32 v[12:13], s[4:5], s8, v24, v[12:13]
	v_add_u32_e32 v13, s2, v13
	s_waitcnt vmcnt(0) lgkmcnt(1)
	v_mul_f64 v[22:23], v[6:7], v[2:3]
	v_mul_f64 v[2:3], v[4:5], v[2:3]
	v_fmac_f64_e32 v[22:23], v[4:5], v[0:1]
	v_fma_f64 v[2:3], v[0:1], v[6:7], -v[2:3]
	v_mul_f64 v[0:1], v[22:23], s[0:1]
	v_mul_f64 v[2:3], v[2:3], s[0:1]
	global_store_dwordx4 v[12:13], v[0:3], off
	global_load_dwordx4 v[0:3], v[16:17], off offset:1888
	v_mad_u64_u32 v[12:13], s[4:5], s8, v24, v[12:13]
	v_add_u32_e32 v13, s2, v13
	s_waitcnt vmcnt(0) lgkmcnt(0)
	v_mul_f64 v[4:5], v[10:11], v[2:3]
	v_mul_f64 v[2:3], v[8:9], v[2:3]
	v_fmac_f64_e32 v[4:5], v[8:9], v[0:1]
	v_fma_f64 v[2:3], v[0:1], v[10:11], -v[2:3]
	v_mul_f64 v[0:1], v[4:5], s[0:1]
	v_mul_f64 v[2:3], v[2:3], s[0:1]
	global_store_dwordx4 v[12:13], v[0:3], off
	global_load_dwordx4 v[0:3], v[16:17], off offset:3328
	ds_read_b128 v[4:7], v240 offset:11520
	ds_read_b128 v[8:11], v240 offset:12960
	v_mad_u64_u32 v[12:13], s[4:5], s8, v24, v[12:13]
	v_add_co_u32_e32 v16, vcc, s3, v14
	v_add_u32_e32 v13, s2, v13
	s_nop 0
	v_addc_co_u32_e32 v17, vcc, 0, v15, vcc
	s_movk_i32 s3, 0x4000
	s_waitcnt vmcnt(0) lgkmcnt(1)
	v_mul_f64 v[22:23], v[6:7], v[2:3]
	v_mul_f64 v[2:3], v[4:5], v[2:3]
	v_fmac_f64_e32 v[22:23], v[4:5], v[0:1]
	v_fma_f64 v[2:3], v[0:1], v[6:7], -v[2:3]
	v_mul_f64 v[0:1], v[22:23], s[0:1]
	v_mul_f64 v[2:3], v[2:3], s[0:1]
	global_store_dwordx4 v[12:13], v[0:3], off
	global_load_dwordx4 v[0:3], v[16:17], off offset:672
	v_mad_u64_u32 v[12:13], s[4:5], s8, v24, v[12:13]
	v_add_u32_e32 v13, s2, v13
	s_waitcnt vmcnt(0) lgkmcnt(0)
	v_mul_f64 v[4:5], v[10:11], v[2:3]
	v_mul_f64 v[2:3], v[8:9], v[2:3]
	v_fmac_f64_e32 v[4:5], v[8:9], v[0:1]
	v_fma_f64 v[2:3], v[0:1], v[10:11], -v[2:3]
	v_mul_f64 v[0:1], v[4:5], s[0:1]
	v_mul_f64 v[2:3], v[2:3], s[0:1]
	global_store_dwordx4 v[12:13], v[0:3], off
	global_load_dwordx4 v[0:3], v[16:17], off offset:2112
	ds_read_b128 v[4:7], v240 offset:14400
	ds_read_b128 v[8:11], v240 offset:15840
	v_mad_u64_u32 v[12:13], s[4:5], s8, v24, v[12:13]
	v_add_u32_e32 v13, s2, v13
	s_waitcnt vmcnt(0) lgkmcnt(1)
	v_mul_f64 v[22:23], v[6:7], v[2:3]
	v_mul_f64 v[2:3], v[4:5], v[2:3]
	v_fmac_f64_e32 v[22:23], v[4:5], v[0:1]
	v_fma_f64 v[2:3], v[0:1], v[6:7], -v[2:3]
	v_mul_f64 v[0:1], v[22:23], s[0:1]
	v_mul_f64 v[2:3], v[2:3], s[0:1]
	global_store_dwordx4 v[12:13], v[0:3], off
	global_load_dwordx4 v[0:3], v[16:17], off offset:3552
	v_mad_u64_u32 v[12:13], s[4:5], s8, v24, v[12:13]
	v_add_co_u32_e32 v16, vcc, s3, v14
	v_add_u32_e32 v13, s2, v13
	s_nop 0
	v_addc_co_u32_e32 v17, vcc, 0, v15, vcc
	s_movk_i32 s3, 0x5000
	v_add_co_u32_e32 v14, vcc, s3, v14
	s_waitcnt vmcnt(0) lgkmcnt(0)
	v_mul_f64 v[4:5], v[10:11], v[2:3]
	v_mul_f64 v[2:3], v[8:9], v[2:3]
	v_fmac_f64_e32 v[4:5], v[8:9], v[0:1]
	v_fma_f64 v[2:3], v[0:1], v[10:11], -v[2:3]
	v_mul_f64 v[0:1], v[4:5], s[0:1]
	v_mul_f64 v[2:3], v[2:3], s[0:1]
	global_store_dwordx4 v[12:13], v[0:3], off
	global_load_dwordx4 v[0:3], v[16:17], off offset:896
	ds_read_b128 v[4:7], v240 offset:17280
	ds_read_b128 v[8:11], v240 offset:18720
	v_mad_u64_u32 v[12:13], s[4:5], s8, v24, v[12:13]
	v_add_u32_e32 v13, s2, v13
	v_addc_co_u32_e32 v15, vcc, 0, v15, vcc
	s_waitcnt vmcnt(0) lgkmcnt(1)
	v_mul_f64 v[22:23], v[6:7], v[2:3]
	v_mul_f64 v[2:3], v[4:5], v[2:3]
	v_fmac_f64_e32 v[22:23], v[4:5], v[0:1]
	v_fma_f64 v[2:3], v[0:1], v[6:7], -v[2:3]
	v_mul_f64 v[0:1], v[22:23], s[0:1]
	v_mul_f64 v[2:3], v[2:3], s[0:1]
	global_store_dwordx4 v[12:13], v[0:3], off
	global_load_dwordx4 v[0:3], v[16:17], off offset:2336
	v_mad_u64_u32 v[12:13], s[4:5], s8, v24, v[12:13]
	v_add_u32_e32 v13, s2, v13
	s_waitcnt vmcnt(0) lgkmcnt(0)
	v_mul_f64 v[4:5], v[10:11], v[2:3]
	v_mul_f64 v[2:3], v[8:9], v[2:3]
	v_fmac_f64_e32 v[4:5], v[8:9], v[0:1]
	v_fma_f64 v[2:3], v[0:1], v[10:11], -v[2:3]
	v_mul_f64 v[0:1], v[4:5], s[0:1]
	v_mul_f64 v[2:3], v[2:3], s[0:1]
	global_store_dwordx4 v[12:13], v[0:3], off
	global_load_dwordx4 v[0:3], v[16:17], off offset:3776
	ds_read_b128 v[4:7], v240 offset:20160
	ds_read_b128 v[8:11], v240 offset:21600
	v_mad_u64_u32 v[12:13], s[4:5], s8, v24, v[12:13]
	v_add_u32_e32 v13, s2, v13
	s_waitcnt vmcnt(0) lgkmcnt(1)
	v_mul_f64 v[16:17], v[6:7], v[2:3]
	v_mul_f64 v[2:3], v[4:5], v[2:3]
	v_fmac_f64_e32 v[16:17], v[4:5], v[0:1]
	v_fma_f64 v[2:3], v[0:1], v[6:7], -v[2:3]
	v_mul_f64 v[0:1], v[16:17], s[0:1]
	v_mul_f64 v[2:3], v[2:3], s[0:1]
	global_store_dwordx4 v[12:13], v[0:3], off
	global_load_dwordx4 v[0:3], v[14:15], off offset:1120
	v_mad_u64_u32 v[4:5], s[4:5], s8, v24, v[12:13]
	v_add_u32_e32 v5, s2, v5
	s_waitcnt vmcnt(0) lgkmcnt(0)
	v_mul_f64 v[6:7], v[10:11], v[2:3]
	v_mul_f64 v[2:3], v[8:9], v[2:3]
	v_fmac_f64_e32 v[6:7], v[8:9], v[0:1]
	v_fma_f64 v[2:3], v[0:1], v[10:11], -v[2:3]
	v_mul_f64 v[0:1], v[6:7], s[0:1]
	v_mul_f64 v[2:3], v[2:3], s[0:1]
	global_store_dwordx4 v[4:5], v[0:3], off
	global_load_dwordx4 v[0:3], v[14:15], off offset:2560
	v_mad_u64_u32 v[4:5], s[4:5], s8, v24, v[4:5]
	v_add_u32_e32 v5, s2, v5
	s_waitcnt vmcnt(0)
	v_mul_f64 v[6:7], v[20:21], v[2:3]
	v_mul_f64 v[2:3], v[18:19], v[2:3]
	v_fmac_f64_e32 v[6:7], v[18:19], v[0:1]
	v_fma_f64 v[2:3], v[0:1], v[20:21], -v[2:3]
	v_mul_f64 v[0:1], v[6:7], s[0:1]
	v_mul_f64 v[2:3], v[2:3], s[0:1]
	global_store_dwordx4 v[4:5], v[0:3], off
.LBB0_23:
	s_endpgm
	.section	.rodata,"a",@progbits
	.p2align	6, 0x0
	.amdhsa_kernel bluestein_single_back_len1530_dim1_dp_op_CI_CI
		.amdhsa_group_segment_fixed_size 24480
		.amdhsa_private_segment_fixed_size 0
		.amdhsa_kernarg_size 104
		.amdhsa_user_sgpr_count 2
		.amdhsa_user_sgpr_dispatch_ptr 0
		.amdhsa_user_sgpr_queue_ptr 0
		.amdhsa_user_sgpr_kernarg_segment_ptr 1
		.amdhsa_user_sgpr_dispatch_id 0
		.amdhsa_user_sgpr_kernarg_preload_length 0
		.amdhsa_user_sgpr_kernarg_preload_offset 0
		.amdhsa_user_sgpr_private_segment_size 0
		.amdhsa_uses_dynamic_stack 0
		.amdhsa_enable_private_segment 0
		.amdhsa_system_sgpr_workgroup_id_x 1
		.amdhsa_system_sgpr_workgroup_id_y 0
		.amdhsa_system_sgpr_workgroup_id_z 0
		.amdhsa_system_sgpr_workgroup_info 0
		.amdhsa_system_vgpr_workitem_id 0
		.amdhsa_next_free_vgpr 440
		.amdhsa_next_free_sgpr 62
		.amdhsa_accum_offset 256
		.amdhsa_reserve_vcc 1
		.amdhsa_float_round_mode_32 0
		.amdhsa_float_round_mode_16_64 0
		.amdhsa_float_denorm_mode_32 3
		.amdhsa_float_denorm_mode_16_64 3
		.amdhsa_dx10_clamp 1
		.amdhsa_ieee_mode 1
		.amdhsa_fp16_overflow 0
		.amdhsa_tg_split 0
		.amdhsa_exception_fp_ieee_invalid_op 0
		.amdhsa_exception_fp_denorm_src 0
		.amdhsa_exception_fp_ieee_div_zero 0
		.amdhsa_exception_fp_ieee_overflow 0
		.amdhsa_exception_fp_ieee_underflow 0
		.amdhsa_exception_fp_ieee_inexact 0
		.amdhsa_exception_int_div_zero 0
	.end_amdhsa_kernel
	.text
.Lfunc_end0:
	.size	bluestein_single_back_len1530_dim1_dp_op_CI_CI, .Lfunc_end0-bluestein_single_back_len1530_dim1_dp_op_CI_CI
                                        ; -- End function
	.section	.AMDGPU.csdata,"",@progbits
; Kernel info:
; codeLenInByte = 30268
; NumSgprs: 68
; NumVgprs: 256
; NumAgprs: 184
; TotalNumVgprs: 440
; ScratchSize: 0
; MemoryBound: 0
; FloatMode: 240
; IeeeMode: 1
; LDSByteSize: 24480 bytes/workgroup (compile time only)
; SGPRBlocks: 8
; VGPRBlocks: 54
; NumSGPRsForWavesPerEU: 68
; NumVGPRsForWavesPerEU: 440
; AccumOffset: 256
; Occupancy: 1
; WaveLimiterHint : 1
; COMPUTE_PGM_RSRC2:SCRATCH_EN: 0
; COMPUTE_PGM_RSRC2:USER_SGPR: 2
; COMPUTE_PGM_RSRC2:TRAP_HANDLER: 0
; COMPUTE_PGM_RSRC2:TGID_X_EN: 1
; COMPUTE_PGM_RSRC2:TGID_Y_EN: 0
; COMPUTE_PGM_RSRC2:TGID_Z_EN: 0
; COMPUTE_PGM_RSRC2:TIDIG_COMP_CNT: 0
; COMPUTE_PGM_RSRC3_GFX90A:ACCUM_OFFSET: 63
; COMPUTE_PGM_RSRC3_GFX90A:TG_SPLIT: 0
	.text
	.p2alignl 6, 3212836864
	.fill 256, 4, 3212836864
	.type	__hip_cuid_45a1542580019d65,@object ; @__hip_cuid_45a1542580019d65
	.section	.bss,"aw",@nobits
	.globl	__hip_cuid_45a1542580019d65
__hip_cuid_45a1542580019d65:
	.byte	0                               ; 0x0
	.size	__hip_cuid_45a1542580019d65, 1

	.ident	"AMD clang version 19.0.0git (https://github.com/RadeonOpenCompute/llvm-project roc-6.4.0 25133 c7fe45cf4b819c5991fe208aaa96edf142730f1d)"
	.section	".note.GNU-stack","",@progbits
	.addrsig
	.addrsig_sym __hip_cuid_45a1542580019d65
	.amdgpu_metadata
---
amdhsa.kernels:
  - .agpr_count:     184
    .args:
      - .actual_access:  read_only
        .address_space:  global
        .offset:         0
        .size:           8
        .value_kind:     global_buffer
      - .actual_access:  read_only
        .address_space:  global
        .offset:         8
        .size:           8
        .value_kind:     global_buffer
      - .actual_access:  read_only
        .address_space:  global
        .offset:         16
        .size:           8
        .value_kind:     global_buffer
      - .actual_access:  read_only
        .address_space:  global
        .offset:         24
        .size:           8
        .value_kind:     global_buffer
      - .actual_access:  read_only
        .address_space:  global
        .offset:         32
        .size:           8
        .value_kind:     global_buffer
      - .offset:         40
        .size:           8
        .value_kind:     by_value
      - .address_space:  global
        .offset:         48
        .size:           8
        .value_kind:     global_buffer
      - .address_space:  global
        .offset:         56
        .size:           8
        .value_kind:     global_buffer
      - .address_space:  global
        .offset:         64
        .size:           8
        .value_kind:     global_buffer
      - .address_space:  global
        .offset:         72
        .size:           8
        .value_kind:     global_buffer
      - .offset:         80
        .size:           4
        .value_kind:     by_value
      - .address_space:  global
        .offset:         88
        .size:           8
        .value_kind:     global_buffer
      - .address_space:  global
        .offset:         96
        .size:           8
        .value_kind:     global_buffer
    .group_segment_fixed_size: 24480
    .kernarg_segment_align: 8
    .kernarg_segment_size: 104
    .language:       OpenCL C
    .language_version:
      - 2
      - 0
    .max_flat_workgroup_size: 102
    .name:           bluestein_single_back_len1530_dim1_dp_op_CI_CI
    .private_segment_fixed_size: 0
    .sgpr_count:     68
    .sgpr_spill_count: 0
    .symbol:         bluestein_single_back_len1530_dim1_dp_op_CI_CI.kd
    .uniform_work_group_size: 1
    .uses_dynamic_stack: false
    .vgpr_count:     440
    .vgpr_spill_count: 0
    .wavefront_size: 64
amdhsa.target:   amdgcn-amd-amdhsa--gfx950
amdhsa.version:
  - 1
  - 2
...

	.end_amdgpu_metadata
